;; amdgpu-corpus repo=ROCm/rocFFT kind=compiled arch=gfx1030 opt=O3
	.text
	.amdgcn_target "amdgcn-amd-amdhsa--gfx1030"
	.amdhsa_code_object_version 6
	.protected	fft_rtc_back_len1404_factors_2_2_3_13_3_3_wgs_117_tpt_117_halfLds_dp_op_CI_CI_unitstride_sbrr_R2C_dirReg ; -- Begin function fft_rtc_back_len1404_factors_2_2_3_13_3_3_wgs_117_tpt_117_halfLds_dp_op_CI_CI_unitstride_sbrr_R2C_dirReg
	.globl	fft_rtc_back_len1404_factors_2_2_3_13_3_3_wgs_117_tpt_117_halfLds_dp_op_CI_CI_unitstride_sbrr_R2C_dirReg
	.p2align	8
	.type	fft_rtc_back_len1404_factors_2_2_3_13_3_3_wgs_117_tpt_117_halfLds_dp_op_CI_CI_unitstride_sbrr_R2C_dirReg,@function
fft_rtc_back_len1404_factors_2_2_3_13_3_3_wgs_117_tpt_117_halfLds_dp_op_CI_CI_unitstride_sbrr_R2C_dirReg: ; @fft_rtc_back_len1404_factors_2_2_3_13_3_3_wgs_117_tpt_117_halfLds_dp_op_CI_CI_unitstride_sbrr_R2C_dirReg
; %bb.0:
	s_clause 0x2
	s_load_dwordx4 s[12:15], s[4:5], 0x0
	s_load_dwordx4 s[8:11], s[4:5], 0x58
	;; [unrolled: 1-line block ×3, first 2 shown]
	v_mul_u32_u24_e32 v1, 0x231, v0
	v_mov_b32_e32 v3, 0
	v_add_nc_u32_sdwa v5, s6, v1 dst_sel:DWORD dst_unused:UNUSED_PAD src0_sel:DWORD src1_sel:WORD_1
	v_mov_b32_e32 v1, 0
	v_mov_b32_e32 v6, v3
	v_mov_b32_e32 v2, 0
	s_waitcnt lgkmcnt(0)
	v_cmp_lt_u64_e64 s0, s[14:15], 2
	s_and_b32 vcc_lo, exec_lo, s0
	s_cbranch_vccnz .LBB0_8
; %bb.1:
	s_load_dwordx2 s[0:1], s[4:5], 0x10
	v_mov_b32_e32 v1, 0
	v_mov_b32_e32 v2, 0
	s_add_u32 s2, s18, 8
	s_addc_u32 s3, s19, 0
	s_add_u32 s6, s16, 8
	s_addc_u32 s7, s17, 0
	v_mov_b32_e32 v53, v2
	v_mov_b32_e32 v52, v1
	s_mov_b64 s[22:23], 1
	s_waitcnt lgkmcnt(0)
	s_add_u32 s20, s0, 8
	s_addc_u32 s21, s1, 0
.LBB0_2:                                ; =>This Inner Loop Header: Depth=1
	s_load_dwordx2 s[24:25], s[20:21], 0x0
                                        ; implicit-def: $vgpr56_vgpr57
	s_mov_b32 s0, exec_lo
	s_waitcnt lgkmcnt(0)
	v_or_b32_e32 v4, s25, v6
	v_cmpx_ne_u64_e32 0, v[3:4]
	s_xor_b32 s1, exec_lo, s0
	s_cbranch_execz .LBB0_4
; %bb.3:                                ;   in Loop: Header=BB0_2 Depth=1
	v_cvt_f32_u32_e32 v4, s24
	v_cvt_f32_u32_e32 v7, s25
	s_sub_u32 s0, 0, s24
	s_subb_u32 s26, 0, s25
	v_fmac_f32_e32 v4, 0x4f800000, v7
	v_rcp_f32_e32 v4, v4
	v_mul_f32_e32 v4, 0x5f7ffffc, v4
	v_mul_f32_e32 v7, 0x2f800000, v4
	v_trunc_f32_e32 v7, v7
	v_fmac_f32_e32 v4, 0xcf800000, v7
	v_cvt_u32_f32_e32 v7, v7
	v_cvt_u32_f32_e32 v4, v4
	v_mul_lo_u32 v8, s0, v7
	v_mul_hi_u32 v9, s0, v4
	v_mul_lo_u32 v10, s26, v4
	v_add_nc_u32_e32 v8, v9, v8
	v_mul_lo_u32 v9, s0, v4
	v_add_nc_u32_e32 v8, v8, v10
	v_mul_hi_u32 v10, v4, v9
	v_mul_lo_u32 v11, v4, v8
	v_mul_hi_u32 v12, v4, v8
	v_mul_hi_u32 v13, v7, v9
	v_mul_lo_u32 v9, v7, v9
	v_mul_hi_u32 v14, v7, v8
	v_mul_lo_u32 v8, v7, v8
	v_add_co_u32 v10, vcc_lo, v10, v11
	v_add_co_ci_u32_e32 v11, vcc_lo, 0, v12, vcc_lo
	v_add_co_u32 v9, vcc_lo, v10, v9
	v_add_co_ci_u32_e32 v9, vcc_lo, v11, v13, vcc_lo
	v_add_co_ci_u32_e32 v10, vcc_lo, 0, v14, vcc_lo
	v_add_co_u32 v8, vcc_lo, v9, v8
	v_add_co_ci_u32_e32 v9, vcc_lo, 0, v10, vcc_lo
	v_add_co_u32 v4, vcc_lo, v4, v8
	v_add_co_ci_u32_e32 v7, vcc_lo, v7, v9, vcc_lo
	v_mul_hi_u32 v8, s0, v4
	v_mul_lo_u32 v10, s26, v4
	v_mul_lo_u32 v9, s0, v7
	v_add_nc_u32_e32 v8, v8, v9
	v_mul_lo_u32 v9, s0, v4
	v_add_nc_u32_e32 v8, v8, v10
	v_mul_hi_u32 v10, v4, v9
	v_mul_lo_u32 v11, v4, v8
	v_mul_hi_u32 v12, v4, v8
	v_mul_hi_u32 v13, v7, v9
	v_mul_lo_u32 v9, v7, v9
	v_mul_hi_u32 v14, v7, v8
	v_mul_lo_u32 v8, v7, v8
	v_add_co_u32 v10, vcc_lo, v10, v11
	v_add_co_ci_u32_e32 v11, vcc_lo, 0, v12, vcc_lo
	v_add_co_u32 v9, vcc_lo, v10, v9
	v_add_co_ci_u32_e32 v9, vcc_lo, v11, v13, vcc_lo
	v_add_co_ci_u32_e32 v10, vcc_lo, 0, v14, vcc_lo
	v_add_co_u32 v8, vcc_lo, v9, v8
	v_add_co_ci_u32_e32 v9, vcc_lo, 0, v10, vcc_lo
	v_add_co_u32 v4, vcc_lo, v4, v8
	v_add_co_ci_u32_e32 v11, vcc_lo, v7, v9, vcc_lo
	v_mul_hi_u32 v13, v5, v4
	v_mad_u64_u32 v[9:10], null, v6, v4, 0
	v_mad_u64_u32 v[7:8], null, v5, v11, 0
	;; [unrolled: 1-line block ×3, first 2 shown]
	v_add_co_u32 v4, vcc_lo, v13, v7
	v_add_co_ci_u32_e32 v7, vcc_lo, 0, v8, vcc_lo
	v_add_co_u32 v4, vcc_lo, v4, v9
	v_add_co_ci_u32_e32 v4, vcc_lo, v7, v10, vcc_lo
	v_add_co_ci_u32_e32 v7, vcc_lo, 0, v12, vcc_lo
	v_add_co_u32 v4, vcc_lo, v4, v11
	v_add_co_ci_u32_e32 v9, vcc_lo, 0, v7, vcc_lo
	v_mul_lo_u32 v10, s25, v4
	v_mad_u64_u32 v[7:8], null, s24, v4, 0
	v_mul_lo_u32 v11, s24, v9
	v_sub_co_u32 v7, vcc_lo, v5, v7
	v_add3_u32 v8, v8, v11, v10
	v_sub_nc_u32_e32 v10, v6, v8
	v_subrev_co_ci_u32_e64 v10, s0, s25, v10, vcc_lo
	v_add_co_u32 v11, s0, v4, 2
	v_add_co_ci_u32_e64 v12, s0, 0, v9, s0
	v_sub_co_u32 v13, s0, v7, s24
	v_sub_co_ci_u32_e32 v8, vcc_lo, v6, v8, vcc_lo
	v_subrev_co_ci_u32_e64 v10, s0, 0, v10, s0
	v_cmp_le_u32_e32 vcc_lo, s24, v13
	v_cmp_eq_u32_e64 s0, s25, v8
	v_cndmask_b32_e64 v13, 0, -1, vcc_lo
	v_cmp_le_u32_e32 vcc_lo, s25, v10
	v_cndmask_b32_e64 v14, 0, -1, vcc_lo
	v_cmp_le_u32_e32 vcc_lo, s24, v7
	;; [unrolled: 2-line block ×3, first 2 shown]
	v_cndmask_b32_e64 v15, 0, -1, vcc_lo
	v_cmp_eq_u32_e32 vcc_lo, s25, v10
	v_cndmask_b32_e64 v7, v15, v7, s0
	v_cndmask_b32_e32 v10, v14, v13, vcc_lo
	v_add_co_u32 v13, vcc_lo, v4, 1
	v_add_co_ci_u32_e32 v14, vcc_lo, 0, v9, vcc_lo
	v_cmp_ne_u32_e32 vcc_lo, 0, v10
	v_cndmask_b32_e32 v8, v14, v12, vcc_lo
	v_cndmask_b32_e32 v10, v13, v11, vcc_lo
	v_cmp_ne_u32_e32 vcc_lo, 0, v7
	v_cndmask_b32_e32 v57, v9, v8, vcc_lo
	v_cndmask_b32_e32 v56, v4, v10, vcc_lo
.LBB0_4:                                ;   in Loop: Header=BB0_2 Depth=1
	s_andn2_saveexec_b32 s0, s1
	s_cbranch_execz .LBB0_6
; %bb.5:                                ;   in Loop: Header=BB0_2 Depth=1
	v_cvt_f32_u32_e32 v4, s24
	s_sub_i32 s1, 0, s24
	v_mov_b32_e32 v57, v3
	v_rcp_iflag_f32_e32 v4, v4
	v_mul_f32_e32 v4, 0x4f7ffffe, v4
	v_cvt_u32_f32_e32 v4, v4
	v_mul_lo_u32 v7, s1, v4
	v_mul_hi_u32 v7, v4, v7
	v_add_nc_u32_e32 v4, v4, v7
	v_mul_hi_u32 v4, v5, v4
	v_mul_lo_u32 v7, v4, s24
	v_add_nc_u32_e32 v8, 1, v4
	v_sub_nc_u32_e32 v7, v5, v7
	v_subrev_nc_u32_e32 v9, s24, v7
	v_cmp_le_u32_e32 vcc_lo, s24, v7
	v_cndmask_b32_e32 v7, v7, v9, vcc_lo
	v_cndmask_b32_e32 v4, v4, v8, vcc_lo
	v_cmp_le_u32_e32 vcc_lo, s24, v7
	v_add_nc_u32_e32 v8, 1, v4
	v_cndmask_b32_e32 v56, v4, v8, vcc_lo
.LBB0_6:                                ;   in Loop: Header=BB0_2 Depth=1
	s_or_b32 exec_lo, exec_lo, s0
	v_mul_lo_u32 v4, v57, s24
	v_mul_lo_u32 v9, v56, s25
	s_load_dwordx2 s[0:1], s[6:7], 0x0
	v_mad_u64_u32 v[7:8], null, v56, s24, 0
	s_load_dwordx2 s[24:25], s[2:3], 0x0
	s_add_u32 s22, s22, 1
	s_addc_u32 s23, s23, 0
	s_add_u32 s2, s2, 8
	s_addc_u32 s3, s3, 0
	s_add_u32 s6, s6, 8
	v_add3_u32 v4, v8, v9, v4
	v_sub_co_u32 v5, vcc_lo, v5, v7
	s_addc_u32 s7, s7, 0
	s_add_u32 s20, s20, 8
	v_sub_co_ci_u32_e32 v4, vcc_lo, v6, v4, vcc_lo
	s_addc_u32 s21, s21, 0
	s_waitcnt lgkmcnt(0)
	v_mul_lo_u32 v6, s0, v4
	v_mul_lo_u32 v7, s1, v5
	v_mad_u64_u32 v[1:2], null, s0, v5, v[1:2]
	v_mul_lo_u32 v4, s24, v4
	v_mul_lo_u32 v8, s25, v5
	v_mad_u64_u32 v[52:53], null, s24, v5, v[52:53]
	v_cmp_ge_u64_e64 s0, s[22:23], s[14:15]
	v_add3_u32 v2, v7, v2, v6
	v_add3_u32 v53, v8, v53, v4
	s_and_b32 vcc_lo, exec_lo, s0
	s_cbranch_vccnz .LBB0_9
; %bb.7:                                ;   in Loop: Header=BB0_2 Depth=1
	v_mov_b32_e32 v5, v56
	v_mov_b32_e32 v6, v57
	s_branch .LBB0_2
.LBB0_8:
	v_mov_b32_e32 v53, v2
	v_mov_b32_e32 v57, v6
	;; [unrolled: 1-line block ×4, first 2 shown]
.LBB0_9:
	s_load_dwordx2 s[0:1], s[4:5], 0x28
	v_mul_hi_u32 v3, 0x2302303, v0
	s_lshl_b64 s[4:5], s[14:15], 3
                                        ; implicit-def: $vgpr54
                                        ; implicit-def: $vgpr58
                                        ; implicit-def: $vgpr63
                                        ; implicit-def: $vgpr62
                                        ; implicit-def: $vgpr61
                                        ; implicit-def: $vgpr60
	s_add_u32 s2, s18, s4
	s_addc_u32 s3, s19, s5
	s_waitcnt lgkmcnt(0)
	v_cmp_gt_u64_e32 vcc_lo, s[0:1], v[56:57]
	v_cmp_le_u64_e64 s0, s[0:1], v[56:57]
	s_and_saveexec_b32 s1, s0
	s_xor_b32 s0, exec_lo, s1
; %bb.10:
	v_mul_u32_u24_e32 v1, 0x75, v3
                                        ; implicit-def: $vgpr3
	v_sub_nc_u32_e32 v54, v0, v1
                                        ; implicit-def: $vgpr0
                                        ; implicit-def: $vgpr1_vgpr2
	v_add_nc_u32_e32 v58, 0x75, v54
	v_add_nc_u32_e32 v63, 0xea, v54
	;; [unrolled: 1-line block ×5, first 2 shown]
; %bb.11:
	s_andn2_saveexec_b32 s1, s0
	s_cbranch_execz .LBB0_13
; %bb.12:
	s_add_u32 s4, s16, s4
	s_addc_u32 s5, s17, s5
	v_lshlrev_b64 v[1:2], 4, v[1:2]
	s_load_dwordx2 s[4:5], s[4:5], 0x0
	s_waitcnt lgkmcnt(0)
	v_mul_lo_u32 v6, s5, v56
	v_mul_lo_u32 v7, s4, v57
	v_mad_u64_u32 v[4:5], null, s4, v56, 0
	v_add3_u32 v5, v5, v7, v6
	v_mul_u32_u24_e32 v6, 0x75, v3
	v_lshlrev_b64 v[3:4], 4, v[4:5]
	v_sub_nc_u32_e32 v54, v0, v6
	v_lshlrev_b32_e32 v48, 4, v54
	v_add_co_u32 v0, s0, s8, v3
	v_add_co_ci_u32_e64 v3, s0, s9, v4, s0
	v_add_nc_u32_e32 v58, 0x75, v54
	v_add_co_u32 v0, s0, v0, v1
	v_add_co_ci_u32_e64 v1, s0, v3, v2, s0
	v_add_nc_u32_e32 v63, 0xea, v54
	v_add_co_u32 v24, s0, v0, v48
	v_add_co_ci_u32_e64 v25, s0, 0, v1, s0
	s_clause 0x1
	global_load_dwordx4 v[0:3], v[24:25], off
	global_load_dwordx4 v[4:7], v[24:25], off offset:1872
	v_add_co_u32 v8, s0, 0x800, v24
	v_add_co_ci_u32_e64 v9, s0, 0, v25, s0
	v_add_co_u32 v12, s0, 0x1000, v24
	v_add_co_ci_u32_e64 v13, s0, 0, v25, s0
	;; [unrolled: 2-line block ×10, first 2 shown]
	s_clause 0x9
	global_load_dwordx4 v[8:11], v[8:9], off offset:1696
	global_load_dwordx4 v[12:15], v[12:13], off offset:1520
	global_load_dwordx4 v[16:19], v[16:17], off offset:1344
	global_load_dwordx4 v[20:23], v[20:21], off offset:1168
	global_load_dwordx4 v[24:27], v[26:27], off offset:992
	global_load_dwordx4 v[28:31], v[28:29], off offset:816
	global_load_dwordx4 v[32:35], v[32:33], off offset:640
	global_load_dwordx4 v[36:39], v[36:37], off offset:464
	global_load_dwordx4 v[40:43], v[40:41], off offset:288
	global_load_dwordx4 v[44:47], v[44:45], off offset:112
	v_add_nc_u32_e32 v48, 0, v48
	v_add_nc_u32_e32 v62, 0x15f, v54
	;; [unrolled: 1-line block ×4, first 2 shown]
	s_waitcnt vmcnt(11)
	ds_write_b128 v48, v[0:3]
	s_waitcnt vmcnt(10)
	ds_write_b128 v48, v[4:7] offset:1872
	s_waitcnt vmcnt(9)
	ds_write_b128 v48, v[8:11] offset:3744
	s_waitcnt vmcnt(8)
	ds_write_b128 v48, v[12:15] offset:5616
	s_waitcnt vmcnt(7)
	ds_write_b128 v48, v[16:19] offset:7488
	s_waitcnt vmcnt(6)
	ds_write_b128 v48, v[20:23] offset:9360
	s_waitcnt vmcnt(5)
	ds_write_b128 v48, v[24:27] offset:11232
	s_waitcnt vmcnt(4)
	ds_write_b128 v48, v[28:31] offset:13104
	s_waitcnt vmcnt(3)
	ds_write_b128 v48, v[32:35] offset:14976
	s_waitcnt vmcnt(2)
	ds_write_b128 v48, v[36:39] offset:16848
	s_waitcnt vmcnt(1)
	ds_write_b128 v48, v[40:43] offset:18720
	s_waitcnt vmcnt(0)
	ds_write_b128 v48, v[44:47] offset:20592
.LBB0_13:
	s_or_b32 exec_lo, exec_lo, s1
	v_lshlrev_b32_e32 v55, 4, v54
	s_load_dwordx2 s[2:3], s[2:3], 0x0
	s_waitcnt lgkmcnt(0)
	s_barrier
	buffer_gl0_inv
	v_add_nc_u32_e32 v179, 0, v55
	v_lshl_add_u32 v67, v58, 5, 0
	v_lshl_add_u32 v69, v63, 5, 0
	v_and_b32_e32 v104, 1, v60
	v_lshl_add_u32 v181, v62, 5, 0
	ds_read_b128 v[0:3], v179 offset:11232
	ds_read_b128 v[4:7], v179
	ds_read_b128 v[8:11], v179 offset:1872
	ds_read_b128 v[12:15], v179 offset:13104
	;; [unrolled: 1-line block ×10, first 2 shown]
	v_lshl_add_u32 v182, v61, 5, 0
	v_lshl_add_u32 v180, v60, 5, 0
	s_waitcnt lgkmcnt(0)
	s_barrier
	buffer_gl0_inv
	v_lshlrev_b32_e32 v65, 4, v58
	v_lshlrev_b32_e32 v59, 4, v60
	;; [unrolled: 1-line block ×4, first 2 shown]
	v_add_f64 v[48:49], v[4:5], -v[0:1]
	v_add_f64 v[50:51], v[6:7], -v[2:3]
	;; [unrolled: 1-line block ×12, first 2 shown]
	v_and_b32_e32 v3, 1, v54
	v_and_b32_e32 v2, 1, v58
	v_add_nc_u32_e32 v1, v179, v55
	v_sub_nc_u32_e32 v64, v180, v59
	v_and_b32_e32 v112, 3, v54
	v_and_b32_e32 v113, 3, v58
	v_lshlrev_b32_e32 v0, 4, v2
	v_and_b32_e32 v114, 3, v63
	v_and_b32_e32 v115, 3, v62
	v_lshrrev_b32_e32 v117, 2, v58
	v_fma_f64 v[70:71], v[4:5], 2.0, -v[48:49]
	v_fma_f64 v[72:73], v[6:7], 2.0, -v[50:51]
	v_fma_f64 v[5:6], v[8:9], 2.0, -v[12:13]
	v_fma_f64 v[7:8], v[10:11], 2.0, -v[14:15]
	v_fma_f64 v[20:21], v[20:21], 2.0, -v[16:17]
	v_fma_f64 v[22:23], v[22:23], 2.0, -v[18:19]
	v_fma_f64 v[24:25], v[24:25], 2.0, -v[28:29]
	v_fma_f64 v[26:27], v[26:27], 2.0, -v[30:31]
	v_fma_f64 v[36:37], v[36:37], 2.0, -v[32:33]
	v_fma_f64 v[38:39], v[38:39], 2.0, -v[34:35]
	v_fma_f64 v[40:41], v[40:41], 2.0, -v[44:45]
	v_fma_f64 v[42:43], v[42:43], 2.0, -v[46:47]
	v_lshlrev_b32_e32 v9, 4, v3
	v_and_b32_e32 v4, 1, v62
	v_lshrrev_b32_e32 v116, 2, v54
	s_mov_b32 s0, 0xe8584caa
	s_mov_b32 s1, 0xbfebb67a
	;; [unrolled: 1-line block ×4, first 2 shown]
	ds_write_b128 v1, v[48:51] offset:16
	ds_write_b128 v67, v[12:15] offset:16
	;; [unrolled: 1-line block ×6, first 2 shown]
	ds_write_b128 v1, v[70:73]
	ds_write_b128 v67, v[5:8]
	ds_write_b128 v69, v[20:23]
	ds_write_b128 v181, v[24:27]
	ds_write_b128 v182, v[36:39]
	ds_write_b128 v180, v[40:43]
	s_waitcnt lgkmcnt(0)
	s_barrier
	buffer_gl0_inv
	global_load_dwordx4 v[5:8], v9, s[12:13]
	v_lshlrev_b32_e32 v1, 4, v4
	global_load_dwordx4 v[9:12], v0, s[12:13]
	v_lshlrev_b32_e32 v0, 4, v104
	s_clause 0x1
	global_load_dwordx4 v[13:16], v1, s[12:13]
	global_load_dwordx4 v[17:20], v0, s[12:13]
	ds_read_b128 v[21:24], v179 offset:11232
	ds_read_b128 v[25:28], v179 offset:13104
	ds_read_b128 v[29:32], v179 offset:14976
	ds_read_b128 v[33:36], v179 offset:16848
	ds_read_b128 v[37:40], v179 offset:18720
	ds_read_b128 v[41:44], v179 offset:20592
	v_lshlrev_b32_e32 v73, 4, v61
	v_lshlrev_b32_e32 v71, 4, v63
	;; [unrolled: 1-line block ×3, first 2 shown]
	v_sub_nc_u32_e32 v0, v67, v65
	ds_read_b128 v[45:48], v179
	ds_read_b128 v[74:77], v0
	v_sub_nc_u32_e32 v51, v182, v73
	v_sub_nc_u32_e32 v1, v69, v71
	;; [unrolled: 1-line block ×3, first 2 shown]
	ds_read_b128 v[78:81], v51
	ds_read_b128 v[82:85], v1
	;; [unrolled: 1-line block ×3, first 2 shown]
	v_lshlrev_b32_e32 v70, 1, v62
	s_waitcnt vmcnt(3) lgkmcnt(10)
	v_mul_f64 v[49:50], v[23:24], v[7:8]
	v_mul_f64 v[90:91], v[21:22], v[7:8]
	s_waitcnt vmcnt(2) lgkmcnt(9)
	v_mul_f64 v[92:93], v[27:28], v[11:12]
	v_mul_f64 v[11:12], v[25:26], v[11:12]
	s_waitcnt lgkmcnt(8)
	v_mul_f64 v[94:95], v[31:32], v[7:8]
	v_mul_f64 v[96:97], v[29:30], v[7:8]
	s_waitcnt vmcnt(1) lgkmcnt(7)
	v_mul_f64 v[98:99], v[35:36], v[15:16]
	v_mul_f64 v[15:16], v[33:34], v[15:16]
	s_waitcnt lgkmcnt(6)
	v_mul_f64 v[100:101], v[39:40], v[7:8]
	v_mul_f64 v[7:8], v[37:38], v[7:8]
	s_waitcnt vmcnt(0) lgkmcnt(5)
	v_mul_f64 v[102:103], v[43:44], v[19:20]
	v_mul_f64 v[19:20], v[41:42], v[19:20]
	v_fma_f64 v[21:22], v[21:22], v[5:6], v[49:50]
	v_fma_f64 v[23:24], v[23:24], v[5:6], -v[90:91]
	v_fma_f64 v[25:26], v[25:26], v[9:10], v[92:93]
	v_fma_f64 v[27:28], v[27:28], v[9:10], -v[11:12]
	;; [unrolled: 2-line block ×6, first 2 shown]
	ds_read_b128 v[5:8], v64
	v_lshlrev_b32_e32 v64, 1, v54
	v_lshlrev_b32_e32 v49, 1, v61
	v_and_or_b32 v90, 0x1fc, v66, v2
	v_and_or_b32 v91, 0x3fc, v68, v3
	;; [unrolled: 1-line block ×5, first 2 shown]
	s_waitcnt lgkmcnt(0)
	s_barrier
	v_add_f64 v[9:10], v[45:46], -v[21:22]
	v_add_f64 v[11:12], v[47:48], -v[23:24]
	v_add_f64 v[13:14], v[74:75], -v[25:26]
	v_add_f64 v[15:16], v[76:77], -v[27:28]
	v_add_f64 v[17:18], v[82:83], -v[29:30]
	v_add_f64 v[19:20], v[84:85], -v[31:32]
	v_add_f64 v[21:22], v[86:87], -v[33:34]
	v_add_f64 v[23:24], v[88:89], -v[35:36]
	v_add_f64 v[25:26], v[78:79], -v[37:38]
	v_add_f64 v[27:28], v[80:81], -v[39:40]
	v_add_f64 v[29:30], v[5:6], -v[41:42]
	v_add_f64 v[31:32], v[7:8], -v[43:44]
	v_lshlrev_b32_e32 v33, 1, v60
	v_lshl_add_u32 v49, v49, 4, 0
	buffer_gl0_inv
	v_and_or_b32 v93, 0x5fc, v33, v104
	v_fma_f64 v[33:34], v[45:46], 2.0, -v[9:10]
	v_fma_f64 v[35:36], v[47:48], 2.0, -v[11:12]
	;; [unrolled: 1-line block ×12, first 2 shown]
	v_lshl_add_u32 v7, v50, 4, 0
	v_lshl_add_u32 v8, v90, 4, 0
	;; [unrolled: 1-line block ×3, first 2 shown]
	v_lshlrev_b32_e32 v6, 5, v112
	v_lshlrev_b32_e32 v78, 5, v113
	v_lshl_add_u32 v79, v92, 4, 0
	v_lshl_add_u32 v80, v93, 4, 0
	ds_write_b128 v7, v[9:12] offset:32
	ds_write_b128 v7, v[33:36]
	ds_write_b128 v8, v[37:40]
	ds_write_b128 v8, v[13:16] offset:32
	ds_write_b128 v50, v[41:44]
	ds_write_b128 v50, v[17:20] offset:32
	;; [unrolled: 2-line block ×5, first 2 shown]
	v_lshlrev_b32_e32 v22, 5, v114
	v_lshlrev_b32_e32 v30, 5, v115
	s_waitcnt lgkmcnt(0)
	s_barrier
	buffer_gl0_inv
	s_clause 0x7
	global_load_dwordx4 v[2:5], v6, s[12:13] offset:32
	global_load_dwordx4 v[6:9], v6, s[12:13] offset:48
	;; [unrolled: 1-line block ×8, first 2 shown]
	ds_read_b128 v[34:37], v51
	ds_read_b128 v[38:41], v179 offset:14976
	ds_read_b128 v[42:45], v179 offset:9360
	;; [unrolled: 1-line block ×7, first 2 shown]
	ds_read_b128 v[90:93], v105
	ds_read_b128 v[94:97], v179
	s_waitcnt vmcnt(7) lgkmcnt(9)
	v_mul_f64 v[50:51], v[36:37], v[4:5]
	s_waitcnt vmcnt(6) lgkmcnt(8)
	v_mul_f64 v[98:99], v[40:41], v[8:9]
	v_mul_f64 v[4:5], v[34:35], v[4:5]
	v_mul_f64 v[8:9], v[38:39], v[8:9]
	s_waitcnt vmcnt(5) lgkmcnt(7)
	v_mul_f64 v[100:101], v[44:45], v[12:13]
	s_waitcnt vmcnt(4) lgkmcnt(6)
	v_mul_f64 v[102:103], v[48:49], v[16:17]
	v_mul_f64 v[12:13], v[42:43], v[12:13]
	v_mul_f64 v[16:17], v[46:47], v[16:17]
	;; [unrolled: 6-line block ×4, first 2 shown]
	v_fma_f64 v[34:35], v[34:35], v[2:3], v[50:51]
	v_fma_f64 v[38:39], v[38:39], v[6:7], v[98:99]
	v_fma_f64 v[36:37], v[36:37], v[2:3], -v[4:5]
	v_fma_f64 v[40:41], v[40:41], v[6:7], -v[8:9]
	v_fma_f64 v[42:43], v[42:43], v[10:11], v[100:101]
	v_fma_f64 v[46:47], v[46:47], v[14:15], v[102:103]
	v_fma_f64 v[10:11], v[44:45], v[10:11], -v[12:13]
	v_fma_f64 v[12:13], v[48:49], v[14:15], -v[16:17]
	;; [unrolled: 4-line block ×4, first 2 shown]
	v_mul_lo_u32 v48, v117, 12
	v_lshrrev_b32_e32 v28, 2, v63
	v_lshrrev_b32_e32 v30, 2, v62
	v_mul_u32_u24_e32 v44, 12, v116
	ds_read_b128 v[2:5], v0
	ds_read_b128 v[6:9], v1
	v_mul_lo_u32 v108, v28, 12
	v_add_f64 v[0:1], v[34:35], v[38:39]
	v_mul_lo_u32 v109, v30, 12
	v_add_f64 v[28:29], v[36:37], v[40:41]
	v_or_b32_e32 v110, v44, v112
	v_add_f64 v[30:31], v[42:43], v[46:47]
	v_or_b32_e32 v111, v48, v113
	v_add_f64 v[44:45], v[10:11], v[12:13]
	s_waitcnt lgkmcnt(2)
	v_add_f64 v[50:51], v[96:97], v[36:37]
	v_add_f64 v[48:49], v[14:15], v[16:17]
	;; [unrolled: 1-line block ×4, first 2 shown]
	v_add_f64 v[36:37], v[36:37], -v[40:41]
	v_add_f64 v[78:79], v[22:23], v[24:25]
	v_add_f64 v[34:35], v[34:35], -v[38:39]
	v_add_f64 v[80:81], v[26:27], v[32:33]
	v_add_f64 v[98:99], v[92:93], v[26:27]
	;; [unrolled: 1-line block ×3, first 2 shown]
	s_waitcnt lgkmcnt(1)
	v_add_f64 v[82:83], v[4:5], v[10:11]
	v_add_f64 v[84:85], v[2:3], v[42:43]
	s_waitcnt lgkmcnt(0)
	v_add_f64 v[86:87], v[8:9], v[18:19]
	v_add_f64 v[88:89], v[6:7], v[14:15]
	v_add_f64 v[10:11], v[10:11], -v[12:13]
	v_fma_f64 v[94:95], v[0:1], -0.5, v[94:95]
	v_add_f64 v[42:43], v[42:43], -v[46:47]
	v_fma_f64 v[96:97], v[28:29], -0.5, v[96:97]
	;; [unrolled: 2-line block ×5, first 2 shown]
	v_add_f64 v[2:3], v[50:51], v[40:41]
	v_fma_f64 v[8:9], v[74:75], -0.5, v[8:9]
	v_add_f64 v[74:75], v[22:23], -v[24:25]
	v_fma_f64 v[78:79], v[78:79], -0.5, v[90:91]
	v_add_f64 v[0:1], v[76:77], v[38:39]
	v_fma_f64 v[80:81], v[80:81], -0.5, v[92:93]
	v_add_f64 v[26:27], v[98:99], v[32:33]
	v_add_f64 v[24:25], v[100:101], v[24:25]
	;; [unrolled: 1-line block ×6, first 2 shown]
	v_fma_f64 v[4:5], v[36:37], s[0:1], v[94:95]
	v_fma_f64 v[20:21], v[36:37], s[4:5], v[94:95]
	;; [unrolled: 1-line block ×16, first 2 shown]
	v_or_b32_e32 v8, v108, v114
	v_or_b32_e32 v9, v109, v115
	v_cmp_gt_u32_e64 s0, 0x6c, v54
	v_lshl_add_u32 v10, v110, 4, 0
	v_lshl_add_u32 v11, v111, 4, 0
	;; [unrolled: 1-line block ×4, first 2 shown]
	s_barrier
	buffer_gl0_inv
	ds_write_b128 v10, v[0:3]
	ds_write_b128 v10, v[4:7] offset:64
	ds_write_b128 v10, v[20:23] offset:128
	ds_write_b128 v11, v[28:31]
	ds_write_b128 v11, v[32:35] offset:64
	ds_write_b128 v11, v[36:39] offset:128
	;; [unrolled: 3-line block ×4, first 2 shown]
	s_waitcnt lgkmcnt(0)
	s_barrier
	buffer_gl0_inv
                                        ; implicit-def: $vgpr10_vgpr11
	s_and_saveexec_b32 s1, s0
	s_cbranch_execz .LBB0_15
; %bb.14:
	ds_read_b128 v[0:3], v179
	ds_read_b128 v[4:7], v179 offset:1728
	ds_read_b128 v[20:23], v179 offset:3456
	;; [unrolled: 1-line block ×12, first 2 shown]
.LBB0_15:
	s_or_b32 exec_lo, exec_lo, s1
	v_sub_nc_u32_e32 v185, 0, v65
	v_sub_nc_u32_e32 v183, 0, v71
	;; [unrolled: 1-line block ×4, first 2 shown]
	s_waitcnt lgkmcnt(0)
	s_barrier
	buffer_gl0_inv
	s_and_saveexec_b32 s33, s0
	s_cbranch_execz .LBB0_17
; %bb.16:
	v_and_b32_e32 v65, 0xff, v54
	v_mov_b32_e32 v72, 12
	s_mov_b32 s16, 0x24c2f84
	s_mov_b32 s17, 0xbfe5384d
	;; [unrolled: 1-line block ×3, first 2 shown]
	v_mul_lo_u16 v65, 0xab, v65
	s_mov_b32 s34, 0x4267c47c
	s_mov_b32 s28, 0x66966769
	;; [unrolled: 1-line block ×4, first 2 shown]
	v_lshrrev_b16 v65, 11, v65
	s_mov_b32 s4, 0xd0032e0c
	s_mov_b32 s18, 0x4bc48dbf
	;; [unrolled: 1-line block ×4, first 2 shown]
	v_mul_lo_u16 v71, v65, 12
	s_mov_b32 s31, 0x3fea55e2
	s_mov_b32 s5, 0xbfe7f3cc
	;; [unrolled: 1-line block ×4, first 2 shown]
	v_sub_nc_u16 v187, v54, v71
	s_mov_b32 s23, 0xbfefc445
	s_mov_b32 s24, s30
	;; [unrolled: 1-line block ×4, first 2 shown]
	v_mul_u32_u24_sdwa v71, v187, v72 dst_sel:DWORD dst_unused:UNUSED_PAD src0_sel:BYTE_0 src1_sel:DWORD
	s_mov_b32 s0, 0xb2365da1
	s_mov_b32 s14, 0x1ea71119
	;; [unrolled: 1-line block ×4, first 2 shown]
	v_lshlrev_b32_e32 v97, 4, v71
	s_mov_b32 s9, 0x3fbedb7d
	s_mov_b32 s1, 0xbfd6b1d8
	;; [unrolled: 1-line block ×4, first 2 shown]
	s_clause 0x1
	global_load_dwordx4 v[73:76], v97, s[12:13] offset:224
	global_load_dwordx4 v[77:80], v97, s[12:13] offset:240
	s_mov_b32 s7, 0xbfef11f4
	s_mov_b32 s37, 0x3fcea1e5
	;; [unrolled: 1-line block ×3, first 2 shown]
	s_waitcnt vmcnt(1)
	v_mul_f64 v[71:72], v[38:39], v[75:76]
	v_fma_f64 v[71:72], v[36:37], v[73:74], v[71:72]
	v_mul_f64 v[36:37], v[36:37], v[75:76]
	v_fma_f64 v[38:39], v[38:39], v[73:74], -v[36:37]
	s_clause 0x1
	global_load_dwordx4 v[73:76], v97, s[12:13] offset:272
	global_load_dwordx4 v[81:84], v97, s[12:13] offset:256
	s_waitcnt vmcnt(1)
	v_mul_f64 v[36:37], v[50:51], v[75:76]
	v_fma_f64 v[36:37], v[48:49], v[73:74], v[36:37]
	v_mul_f64 v[48:49], v[48:49], v[75:76]
	v_fma_f64 v[48:49], v[50:51], v[73:74], -v[48:49]
	s_clause 0x1
	global_load_dwordx4 v[73:76], v97, s[12:13] offset:208
	global_load_dwordx4 v[85:88], v97, s[12:13] offset:192
	s_waitcnt vmcnt(1)
	v_mul_f64 v[50:51], v[34:35], v[75:76]
	v_fma_f64 v[50:51], v[32:33], v[73:74], v[50:51]
	v_mul_f64 v[32:33], v[32:33], v[75:76]
	v_fma_f64 v[32:33], v[34:35], v[73:74], -v[32:33]
	s_waitcnt vmcnt(0)
	v_mul_f64 v[34:35], v[30:31], v[87:88]
	v_fma_f64 v[34:35], v[28:29], v[85:86], v[34:35]
	v_mul_f64 v[28:29], v[28:29], v[87:88]
	v_fma_f64 v[28:29], v[30:31], v[85:86], -v[28:29]
	s_clause 0x1
	global_load_dwordx4 v[73:76], v97, s[12:13] offset:304
	global_load_dwordx4 v[85:88], v97, s[12:13] offset:288
	s_waitcnt vmcnt(1)
	v_mul_f64 v[30:31], v[46:47], v[75:76]
	v_fma_f64 v[30:31], v[44:45], v[73:74], v[30:31]
	v_mul_f64 v[44:45], v[44:45], v[75:76]
	v_fma_f64 v[44:45], v[46:47], v[73:74], -v[44:45]
	s_clause 0x3
	global_load_dwordx4 v[73:76], v97, s[12:13] offset:176
	global_load_dwordx4 v[89:92], v97, s[12:13] offset:160
	;; [unrolled: 1-line block ×4, first 2 shown]
	s_waitcnt vmcnt(3)
	v_mul_f64 v[46:47], v[22:23], v[75:76]
	v_fma_f64 v[46:47], v[20:21], v[73:74], v[46:47]
	v_mul_f64 v[20:21], v[20:21], v[75:76]
	v_fma_f64 v[73:74], v[22:23], v[73:74], -v[20:21]
	s_waitcnt vmcnt(1)
	v_mul_f64 v[20:21], v[42:43], v[95:96]
	v_mul_f64 v[22:23], v[40:41], v[95:96]
	v_add_f64 v[95:96], v[28:29], -v[44:45]
	v_fma_f64 v[20:21], v[40:41], v[93:94], v[20:21]
	v_mul_f64 v[40:41], v[26:27], v[87:88]
	v_fma_f64 v[22:23], v[42:43], v[93:94], -v[22:23]
	v_mul_f64 v[159:160], v[95:96], s[34:35]
	v_add_f64 v[101:102], v[46:47], -v[20:21]
	v_fma_f64 v[40:41], v[24:25], v[85:86], v[40:41]
	v_mul_f64 v[24:25], v[24:25], v[87:88]
	v_add_f64 v[87:88], v[71:72], -v[36:37]
	v_add_f64 v[93:94], v[50:51], -v[40:41]
	v_fma_f64 v[24:25], v[26:27], v[85:86], -v[24:25]
	v_mul_f64 v[26:27], v[14:15], v[79:80]
	v_mul_f64 v[113:114], v[93:94], s[34:35]
	v_fma_f64 v[26:27], v[12:13], v[77:78], v[26:27]
	v_mul_f64 v[12:13], v[12:13], v[79:80]
	v_fma_f64 v[75:76], v[14:15], v[77:78], -v[12:13]
	v_mul_f64 v[12:13], v[18:19], v[83:84]
	v_mul_f64 v[14:15], v[87:88], s[34:35]
	v_fma_f64 v[42:43], v[16:17], v[81:82], v[12:13]
	v_mul_f64 v[12:13], v[16:17], v[83:84]
	v_add_f64 v[83:84], v[38:39], -v[48:49]
	v_add_f64 v[85:86], v[26:27], -v[42:43]
	v_fma_f64 v[77:78], v[18:19], v[81:82], -v[12:13]
	v_mul_f64 v[12:13], v[6:7], v[91:92]
	v_mul_f64 v[194:195], v[83:84], s[20:21]
	v_mul_f64 v[107:108], v[85:86], s[34:35]
	v_mul_f64 v[198:199], v[85:86], s[28:29]
	v_fma_f64 v[16:17], v[4:5], v[89:90], v[12:13]
	v_mul_f64 v[4:5], v[4:5], v[91:92]
	v_add_f64 v[91:92], v[32:33], -v[24:25]
	v_mul_f64 v[12:13], v[83:84], s[34:35]
	v_fma_f64 v[4:5], v[6:7], v[89:90], -v[4:5]
	s_waitcnt vmcnt(0)
	v_mul_f64 v[6:7], v[10:11], v[99:100]
	v_add_f64 v[89:90], v[75:76], -v[77:78]
	v_mul_f64 v[111:112], v[91:92], s[34:35]
	v_fma_f64 v[79:80], v[8:9], v[97:98], v[6:7]
	v_mul_f64 v[6:7], v[8:9], v[99:100]
	v_add_f64 v[99:100], v[73:74], -v[22:23]
	v_mul_f64 v[109:110], v[89:90], s[34:35]
	v_mul_f64 v[200:201], v[89:90], s[28:29]
	v_add_f64 v[143:144], v[16:17], v[79:80]
	v_fma_f64 v[81:82], v[10:11], v[97:98], -v[6:7]
	v_add_f64 v[10:11], v[16:17], -v[79:80]
	v_add_f64 v[97:98], v[34:35], -v[30:31]
	v_mul_f64 v[6:7], v[101:102], s[34:35]
	v_mul_f64 v[8:9], v[99:100], s[34:35]
	v_add_f64 v[119:120], v[4:5], v[81:82]
	v_mul_f64 v[103:104], v[10:11], s[16:17]
	v_mul_f64 v[161:162], v[97:98], s[34:35]
	s_mov_b32 s35, 0xbfddbe06
	v_mul_f64 v[18:19], v[10:11], s[18:19]
	v_mul_f64 v[105:106], v[10:11], s[20:21]
	;; [unrolled: 1-line block ×5, first 2 shown]
	v_fma_f64 v[123:124], v[119:120], s[4:5], v[103:104]
	v_fma_f64 v[125:126], v[119:120], s[4:5], -v[103:104]
	v_add_f64 v[103:104], v[4:5], -v[81:82]
	v_fma_f64 v[121:122], v[119:120], s[6:7], v[18:19]
	v_fma_f64 v[18:19], v[119:120], s[6:7], -v[18:19]
	v_fma_f64 v[127:128], v[119:120], s[0:1], v[105:106]
	v_fma_f64 v[129:130], v[119:120], s[0:1], -v[105:106]
	;; [unrolled: 2-line block ×5, first 2 shown]
	v_add_f64 v[190:191], v[2:3], v[123:124]
	v_add_f64 v[123:124], v[28:29], v[44:45]
	v_mul_f64 v[119:120], v[103:104], s[16:17]
	v_mul_f64 v[105:106], v[103:104], s[18:19]
	;; [unrolled: 1-line block ×6, first 2 shown]
	v_add_f64 v[177:178], v[2:3], v[18:19]
	v_add_f64 v[169:170], v[2:3], v[125:126]
	;; [unrolled: 1-line block ×6, first 2 shown]
	s_mov_b32 s35, 0x3fe5384d
	s_mov_b32 s34, s16
	v_fma_f64 v[149:150], v[143:144], s[4:5], -v[119:120]
	v_fma_f64 v[119:120], v[143:144], s[4:5], v[119:120]
	v_fma_f64 v[145:146], v[143:144], s[6:7], -v[105:106]
	v_fma_f64 v[147:148], v[143:144], s[6:7], v[105:106]
	;; [unrolled: 2-line block ×6, first 2 shown]
	v_add_f64 v[103:104], v[2:3], v[4:5]
	v_add_f64 v[105:106], v[0:1], v[16:17]
	;; [unrolled: 1-line block ×22, first 2 shown]
	v_fma_f64 v[2:3], v[121:122], s[26:27], -v[8:9]
	v_mul_f64 v[171:172], v[93:94], s[30:31]
	v_mul_f64 v[173:174], v[91:92], s[30:31]
	v_fma_f64 v[8:9], v[121:122], s[26:27], v[8:9]
	v_add_f64 v[137:138], v[26:27], v[42:43]
	v_add_f64 v[73:74], v[103:104], v[73:74]
	v_fma_f64 v[0:1], v[119:120], s[26:27], v[6:7]
	v_fma_f64 v[6:7], v[119:120], s[26:27], -v[6:7]
	v_add_f64 v[46:47], v[105:106], v[46:47]
	v_add_f64 v[2:3], v[2:3], v[175:176]
	v_mul_f64 v[175:176], v[87:88], s[20:21]
	v_add_f64 v[8:9], v[8:9], v[188:189]
	v_add_f64 v[28:29], v[73:74], v[28:29]
	;; [unrolled: 1-line block ×3, first 2 shown]
	v_mul_f64 v[4:5], v[97:98], s[16:17]
	v_add_f64 v[6:7], v[6:7], v[177:178]
	v_add_f64 v[34:35], v[46:47], v[34:35]
	;; [unrolled: 1-line block ×3, first 2 shown]
	v_fma_f64 v[10:11], v[123:124], s[4:5], v[4:5]
	v_fma_f64 v[4:5], v[123:124], s[4:5], -v[4:5]
	v_add_f64 v[28:29], v[28:29], v[38:39]
	v_add_f64 v[0:1], v[10:11], v[0:1]
	v_mul_f64 v[10:11], v[95:96], s[16:17]
	v_add_f64 v[4:5], v[4:5], v[6:7]
	v_add_f64 v[28:29], v[28:29], v[75:76]
	v_fma_f64 v[127:128], v[125:126], s[4:5], -v[10:11]
	v_fma_f64 v[6:7], v[125:126], s[4:5], v[10:11]
	v_fma_f64 v[10:11], v[137:138], s[8:9], v[200:201]
	v_add_f64 v[28:29], v[28:29], v[77:78]
	v_add_f64 v[2:3], v[127:128], v[2:3]
	;; [unrolled: 1-line block ×6, first 2 shown]
	v_fma_f64 v[129:130], v[127:128], s[14:15], v[171:172]
	v_fma_f64 v[8:9], v[127:128], s[14:15], -v[171:172]
	v_mul_f64 v[171:172], v[101:102], s[28:29]
	v_add_f64 v[32:33], v[32:33], v[71:72]
	v_add_f64 v[24:25], v[28:29], v[24:25]
	;; [unrolled: 1-line block ×7, first 2 shown]
	v_fma_f64 v[131:132], v[129:130], s[14:15], -v[173:174]
	v_fma_f64 v[8:9], v[129:130], s[14:15], v[173:174]
	v_mul_f64 v[173:174], v[99:100], s[28:29]
	v_add_f64 v[26:27], v[26:27], v[42:43]
	v_add_f64 v[22:23], v[24:25], v[22:23]
	v_mov_b32_e32 v24, 0x9c0
	v_mov_b32_e32 v25, 4
	v_add_f64 v[2:3], v[131:132], v[2:3]
	v_add_f64 v[131:132], v[38:39], v[48:49]
	;; [unrolled: 1-line block ×4, first 2 shown]
	v_mul_u32_u24_sdwa v24, v65, v24 dst_sel:DWORD dst_unused:UNUSED_PAD src0_sel:WORD_0 src1_sel:DWORD
	v_lshlrev_b32_sdwa v25, v25, v187 dst_sel:DWORD dst_unused:UNUSED_PAD src0_sel:DWORD src1_sel:BYTE_0
	v_add3_u32 v24, 0, v24, v25
	v_add_f64 v[22:23], v[22:23], v[81:82]
	v_fma_f64 v[133:134], v[131:132], s[0:1], v[175:176]
	v_fma_f64 v[8:9], v[131:132], s[0:1], -v[175:176]
	v_mul_f64 v[175:176], v[97:98], s[24:25]
	v_add_f64 v[26:27], v[26:27], v[40:41]
	v_add_f64 v[0:1], v[133:134], v[0:1]
	;; [unrolled: 1-line block ×4, first 2 shown]
	v_fma_f64 v[177:178], v[123:124], s[14:15], v[175:176]
	v_add_f64 v[26:27], v[26:27], v[30:31]
	v_fma_f64 v[135:136], v[133:134], s[0:1], -v[194:195]
	v_fma_f64 v[8:9], v[133:134], s[0:1], v[194:195]
	v_mul_f64 v[194:195], v[85:86], s[20:21]
	v_add_f64 v[20:21], v[26:27], v[20:21]
	v_add_f64 v[196:197], v[135:136], v[2:3]
	;; [unrolled: 1-line block ×5, first 2 shown]
	v_fma_f64 v[6:7], v[135:136], s[8:9], -v[198:199]
	v_fma_f64 v[2:3], v[135:136], s[8:9], v[198:199]
	v_add_f64 v[6:7], v[6:7], v[4:5]
	v_add_f64 v[4:5], v[10:11], v[8:9]
	v_fma_f64 v[8:9], v[119:120], s[8:9], v[171:172]
	v_fma_f64 v[10:11], v[121:122], s[8:9], -v[173:174]
	v_fma_f64 v[171:172], v[119:120], s[8:9], -v[171:172]
	v_add_f64 v[2:3], v[2:3], v[0:1]
	v_fma_f64 v[0:1], v[137:138], s[8:9], -v[200:201]
	v_add_f64 v[8:9], v[8:9], v[190:191]
	v_add_f64 v[10:11], v[10:11], v[192:193]
	;; [unrolled: 1-line block ×3, first 2 shown]
	v_fma_f64 v[171:172], v[121:122], s[8:9], v[173:174]
	v_add_f64 v[0:1], v[0:1], v[196:197]
	v_mul_f64 v[196:197], v[89:90], s[20:21]
	v_add_f64 v[8:9], v[177:178], v[8:9]
	v_mul_f64 v[177:178], v[95:96], s[24:25]
	v_add_f64 v[167:168], v[171:172], v[167:168]
	v_fma_f64 v[171:172], v[123:124], s[14:15], -v[175:176]
	v_fma_f64 v[188:189], v[125:126], s[14:15], -v[177:178]
	v_add_f64 v[169:170], v[171:172], v[169:170]
	v_fma_f64 v[171:172], v[125:126], s[14:15], v[177:178]
	v_add_f64 v[10:11], v[188:189], v[10:11]
	v_mul_f64 v[188:189], v[93:94], s[36:37]
	v_add_f64 v[167:168], v[171:172], v[167:168]
	v_fma_f64 v[190:191], v[127:128], s[6:7], v[188:189]
	v_fma_f64 v[171:172], v[127:128], s[6:7], -v[188:189]
	v_add_f64 v[8:9], v[190:191], v[8:9]
	v_mul_f64 v[190:191], v[91:92], s[36:37]
	v_add_f64 v[169:170], v[171:172], v[169:170]
	v_fma_f64 v[192:193], v[129:130], s[6:7], -v[190:191]
	v_fma_f64 v[171:172], v[129:130], s[6:7], v[190:191]
	v_add_f64 v[10:11], v[192:193], v[10:11]
	v_fma_f64 v[192:193], v[131:132], s[26:27], v[14:15]
	v_add_f64 v[167:168], v[171:172], v[167:168]
	v_fma_f64 v[14:15], v[131:132], s[26:27], -v[14:15]
	v_add_f64 v[8:9], v[192:193], v[8:9]
	v_fma_f64 v[192:193], v[133:134], s[26:27], -v[12:13]
	v_fma_f64 v[12:13], v[133:134], s[26:27], v[12:13]
	v_add_f64 v[14:15], v[14:15], v[169:170]
	v_fma_f64 v[169:170], v[137:138], s[0:1], v[196:197]
	v_add_f64 v[192:193], v[192:193], v[10:11]
	v_add_f64 v[12:13], v[12:13], v[167:168]
	v_fma_f64 v[167:168], v[135:136], s[0:1], -v[194:195]
	v_fma_f64 v[10:11], v[135:136], s[0:1], v[194:195]
	v_add_f64 v[12:13], v[169:170], v[12:13]
	v_add_f64 v[14:15], v[167:168], v[14:15]
	v_mul_f64 v[167:168], v[101:102], s[34:35]
	v_add_f64 v[10:11], v[10:11], v[8:9]
	v_fma_f64 v[8:9], v[137:138], s[0:1], -v[196:197]
	v_fma_f64 v[169:170], v[119:120], s[4:5], v[167:168]
	v_fma_f64 v[167:168], v[119:120], s[4:5], -v[167:168]
	v_add_f64 v[8:9], v[8:9], v[192:193]
	v_add_f64 v[18:19], v[169:170], v[18:19]
	v_mul_f64 v[169:170], v[99:100], s[34:35]
	v_add_f64 v[165:166], v[167:168], v[165:166]
	v_fma_f64 v[171:172], v[121:122], s[4:5], -v[169:170]
	v_fma_f64 v[167:168], v[121:122], s[4:5], v[169:170]
	v_add_f64 v[16:17], v[171:172], v[16:17]
	v_fma_f64 v[171:172], v[123:124], s[26:27], v[161:162]
	v_add_f64 v[163:164], v[167:168], v[163:164]
	v_fma_f64 v[161:162], v[123:124], s[26:27], -v[161:162]
	v_add_f64 v[18:19], v[171:172], v[18:19]
	v_fma_f64 v[171:172], v[125:126], s[26:27], -v[159:160]
	v_fma_f64 v[159:160], v[125:126], s[26:27], v[159:160]
	v_add_f64 v[161:162], v[161:162], v[165:166]
	v_add_f64 v[16:17], v[171:172], v[16:17]
	v_mul_f64 v[171:172], v[93:94], s[22:23]
	v_add_f64 v[159:160], v[159:160], v[163:164]
	v_fma_f64 v[173:174], v[127:128], s[8:9], v[171:172]
	v_fma_f64 v[163:164], v[127:128], s[8:9], -v[171:172]
	v_add_f64 v[18:19], v[173:174], v[18:19]
	v_mul_f64 v[173:174], v[91:92], s[22:23]
	v_add_f64 v[161:162], v[163:164], v[161:162]
	v_fma_f64 v[175:176], v[129:130], s[8:9], -v[173:174]
	v_fma_f64 v[163:164], v[129:130], s[8:9], v[173:174]
	v_add_f64 v[16:17], v[175:176], v[16:17]
	v_mul_f64 v[175:176], v[87:88], s[36:37]
	v_add_f64 v[159:160], v[163:164], v[159:160]
	v_fma_f64 v[177:178], v[131:132], s[6:7], v[175:176]
	v_fma_f64 v[163:164], v[131:132], s[6:7], -v[175:176]
	v_add_f64 v[18:19], v[177:178], v[18:19]
	v_mul_f64 v[177:178], v[83:84], s[36:37]
	v_add_f64 v[161:162], v[163:164], v[161:162]
	v_fma_f64 v[188:189], v[133:134], s[6:7], -v[177:178]
	v_fma_f64 v[163:164], v[133:134], s[6:7], v[177:178]
	v_add_f64 v[16:17], v[188:189], v[16:17]
	v_mul_f64 v[188:189], v[85:86], s[30:31]
	v_add_f64 v[159:160], v[163:164], v[159:160]
	v_fma_f64 v[190:191], v[135:136], s[14:15], v[188:189]
	v_fma_f64 v[163:164], v[135:136], s[14:15], -v[188:189]
	v_add_f64 v[18:19], v[190:191], v[18:19]
	v_mul_f64 v[190:191], v[89:90], s[30:31]
	v_add_f64 v[161:162], v[163:164], v[161:162]
	v_mul_f64 v[163:164], v[101:102], s[20:21]
	v_fma_f64 v[165:166], v[137:138], s[14:15], v[190:191]
	v_fma_f64 v[192:193], v[137:138], s[14:15], -v[190:191]
	v_add_f64 v[159:160], v[165:166], v[159:160]
	v_fma_f64 v[165:166], v[119:120], s[0:1], -v[163:164]
	v_add_f64 v[16:17], v[192:193], v[16:17]
	v_add_f64 v[157:158], v[165:166], v[157:158]
	v_mul_f64 v[165:166], v[99:100], s[20:21]
	v_fma_f64 v[167:168], v[121:122], s[0:1], v[165:166]
	v_add_f64 v[155:156], v[167:168], v[155:156]
	v_mul_f64 v[167:168], v[97:98], s[18:19]
	v_fma_f64 v[169:170], v[123:124], s[6:7], -v[167:168]
	v_add_f64 v[157:158], v[169:170], v[157:158]
	v_mul_f64 v[169:170], v[95:96], s[18:19]
	v_fma_f64 v[171:172], v[125:126], s[6:7], v[169:170]
	v_add_f64 v[155:156], v[171:172], v[155:156]
	v_mul_f64 v[171:172], v[93:94], s[34:35]
	v_mul_f64 v[93:94], v[93:94], s[20:21]
	v_fma_f64 v[173:174], v[127:128], s[4:5], -v[171:172]
	v_add_f64 v[157:158], v[173:174], v[157:158]
	v_mul_f64 v[173:174], v[91:92], s[34:35]
	v_mul_f64 v[91:92], v[91:92], s[20:21]
	v_fma_f64 v[175:176], v[129:130], s[4:5], v[173:174]
	v_add_f64 v[155:156], v[175:176], v[155:156]
	v_mul_f64 v[175:176], v[87:88], s[28:29]
	v_fma_f64 v[177:178], v[131:132], s[8:9], -v[175:176]
	v_add_f64 v[157:158], v[177:178], v[157:158]
	v_mul_f64 v[177:178], v[83:84], s[28:29]
	s_mov_b32 s29, 0x3fedeba7
	s_mov_b32 s28, s20
	v_fma_f64 v[188:189], v[133:134], s[8:9], v[177:178]
	v_add_f64 v[155:156], v[188:189], v[155:156]
	v_fma_f64 v[188:189], v[135:136], s[26:27], -v[107:108]
	v_fma_f64 v[107:108], v[135:136], s[26:27], v[107:108]
	v_add_f64 v[157:158], v[188:189], v[157:158]
	v_fma_f64 v[188:189], v[137:138], s[26:27], v[109:110]
	v_add_f64 v[155:156], v[188:189], v[155:156]
	v_mul_f64 v[188:189], v[101:102], s[18:19]
	v_mul_f64 v[101:102], v[101:102], s[24:25]
	v_fma_f64 v[190:191], v[119:120], s[6:7], -v[188:189]
	v_fma_f64 v[188:189], v[119:120], s[6:7], v[188:189]
	v_add_f64 v[153:154], v[190:191], v[153:154]
	v_mul_f64 v[190:191], v[99:100], s[18:19]
	v_add_f64 v[149:150], v[188:189], v[149:150]
	v_mul_f64 v[99:100], v[99:100], s[24:25]
	v_fma_f64 v[192:193], v[121:122], s[6:7], v[190:191]
	v_fma_f64 v[188:189], v[121:122], s[6:7], -v[190:191]
	v_add_f64 v[151:152], v[192:193], v[151:152]
	v_mul_f64 v[192:193], v[97:98], s[28:29]
	v_add_f64 v[147:148], v[188:189], v[147:148]
	v_mul_f64 v[97:98], v[97:98], s[22:23]
	v_fma_f64 v[194:195], v[123:124], s[0:1], -v[192:193]
	v_fma_f64 v[188:189], v[123:124], s[0:1], v[192:193]
	v_add_f64 v[153:154], v[194:195], v[153:154]
	v_mul_f64 v[194:195], v[95:96], s[28:29]
	v_add_f64 v[149:150], v[188:189], v[149:150]
	v_mul_f64 v[95:96], v[95:96], s[22:23]
	v_fma_f64 v[196:197], v[125:126], s[0:1], v[194:195]
	v_fma_f64 v[188:189], v[125:126], s[0:1], -v[194:195]
	v_add_f64 v[151:152], v[196:197], v[151:152]
	v_fma_f64 v[196:197], v[127:128], s[26:27], -v[113:114]
	v_add_f64 v[147:148], v[188:189], v[147:148]
	v_fma_f64 v[113:114], v[127:128], s[26:27], v[113:114]
	v_add_f64 v[153:154], v[196:197], v[153:154]
	v_fma_f64 v[196:197], v[129:130], s[26:27], v[111:112]
	v_fma_f64 v[111:112], v[129:130], s[26:27], -v[111:112]
	v_add_f64 v[113:114], v[113:114], v[149:150]
	v_add_f64 v[151:152], v[196:197], v[151:152]
	v_mul_f64 v[196:197], v[87:88], s[24:25]
	v_add_f64 v[111:112], v[111:112], v[147:148]
	v_mul_f64 v[87:88], v[87:88], s[16:17]
	v_fma_f64 v[198:199], v[131:132], s[14:15], -v[196:197]
	v_fma_f64 v[147:148], v[131:132], s[14:15], v[196:197]
	v_add_f64 v[153:154], v[198:199], v[153:154]
	v_mul_f64 v[198:199], v[83:84], s[24:25]
	v_add_f64 v[113:114], v[147:148], v[113:114]
	v_fma_f64 v[200:201], v[133:134], s[14:15], v[198:199]
	v_fma_f64 v[147:148], v[133:134], s[14:15], -v[198:199]
	v_add_f64 v[151:152], v[200:201], v[151:152]
	v_mul_f64 v[200:201], v[85:86], s[16:17]
	v_add_f64 v[111:112], v[147:148], v[111:112]
	v_fma_f64 v[147:148], v[135:136], s[4:5], v[200:201]
	v_fma_f64 v[202:203], v[135:136], s[4:5], -v[200:201]
	v_add_f64 v[113:114], v[147:148], v[113:114]
	v_fma_f64 v[147:148], v[119:120], s[0:1], v[163:164]
	v_add_f64 v[153:154], v[202:203], v[153:154]
	v_mul_f64 v[202:203], v[89:90], s[16:17]
	v_mul_f64 v[89:90], v[89:90], s[18:19]
	v_add_f64 v[145:146], v[147:148], v[145:146]
	v_fma_f64 v[147:148], v[121:122], s[0:1], -v[165:166]
	v_fma_f64 v[204:205], v[137:138], s[4:5], v[202:203]
	v_fma_f64 v[149:150], v[137:138], s[4:5], -v[202:203]
	v_add_f64 v[143:144], v[147:148], v[143:144]
	v_fma_f64 v[147:148], v[123:124], s[6:7], v[167:168]
	v_add_f64 v[151:152], v[204:205], v[151:152]
	v_add_f64 v[111:112], v[149:150], v[111:112]
	;; [unrolled: 1-line block ×3, first 2 shown]
	v_fma_f64 v[147:148], v[125:126], s[6:7], -v[169:170]
	v_add_f64 v[143:144], v[147:148], v[143:144]
	v_fma_f64 v[147:148], v[127:128], s[4:5], v[171:172]
	v_add_f64 v[145:146], v[147:148], v[145:146]
	v_fma_f64 v[147:148], v[129:130], s[4:5], -v[173:174]
	v_add_f64 v[143:144], v[147:148], v[143:144]
	v_fma_f64 v[147:148], v[131:132], s[8:9], v[175:176]
	v_add_f64 v[145:146], v[147:148], v[145:146]
	v_fma_f64 v[147:148], v[133:134], s[8:9], -v[177:178]
	v_add_f64 v[143:144], v[147:148], v[143:144]
	v_fma_f64 v[147:148], v[137:138], s[26:27], -v[109:110]
	v_add_f64 v[109:110], v[107:108], v[145:146]
	v_add_f64 v[107:108], v[147:148], v[143:144]
	v_fma_f64 v[143:144], v[119:120], s[14:15], v[101:102]
	v_fma_f64 v[101:102], v[119:120], s[14:15], -v[101:102]
	v_add_f64 v[141:142], v[143:144], v[141:142]
	v_fma_f64 v[143:144], v[121:122], s[14:15], -v[99:100]
	v_fma_f64 v[99:100], v[121:122], s[14:15], v[99:100]
	v_add_f64 v[101:102], v[101:102], v[115:116]
	v_add_f64 v[139:140], v[143:144], v[139:140]
	v_fma_f64 v[143:144], v[123:124], s[8:9], v[97:98]
	v_fma_f64 v[97:98], v[123:124], s[8:9], -v[97:98]
	v_add_f64 v[99:100], v[99:100], v[117:118]
	v_add_f64 v[141:142], v[143:144], v[141:142]
	v_fma_f64 v[143:144], v[125:126], s[8:9], -v[95:96]
	v_fma_f64 v[95:96], v[125:126], s[8:9], v[95:96]
	v_add_f64 v[97:98], v[97:98], v[101:102]
	v_add_f64 v[139:140], v[143:144], v[139:140]
	v_fma_f64 v[143:144], v[127:128], s[0:1], v[93:94]
	v_fma_f64 v[93:94], v[127:128], s[0:1], -v[93:94]
	v_add_f64 v[95:96], v[95:96], v[99:100]
	v_add_f64 v[141:142], v[143:144], v[141:142]
	v_fma_f64 v[143:144], v[129:130], s[0:1], -v[91:92]
	v_fma_f64 v[91:92], v[129:130], s[0:1], v[91:92]
	v_add_f64 v[93:94], v[93:94], v[97:98]
	v_fma_f64 v[97:98], v[137:138], s[6:7], v[89:90]
	v_add_f64 v[139:140], v[143:144], v[139:140]
	v_fma_f64 v[143:144], v[131:132], s[4:5], v[87:88]
	v_fma_f64 v[87:88], v[131:132], s[4:5], -v[87:88]
	v_add_f64 v[91:92], v[91:92], v[95:96]
	v_add_f64 v[141:142], v[143:144], v[141:142]
	v_mul_f64 v[143:144], v[83:84], s[16:17]
	v_add_f64 v[87:88], v[87:88], v[93:94]
	v_fma_f64 v[83:84], v[133:134], s[4:5], -v[143:144]
	v_fma_f64 v[99:100], v[133:134], s[4:5], v[143:144]
	v_add_f64 v[83:84], v[83:84], v[139:140]
	v_mul_f64 v[139:140], v[85:86], s[18:19]
	v_add_f64 v[91:92], v[99:100], v[91:92]
	v_fma_f64 v[85:86], v[135:136], s[6:7], v[139:140]
	v_fma_f64 v[95:96], v[135:136], s[6:7], -v[139:140]
	v_add_f64 v[85:86], v[85:86], v[141:142]
	v_fma_f64 v[141:142], v[137:138], s[6:7], -v[89:90]
	v_add_f64 v[89:90], v[95:96], v[87:88]
	v_add_f64 v[87:88], v[97:98], v[91:92]
	;; [unrolled: 1-line block ×3, first 2 shown]
	ds_write_b128 v24, v[155:158] offset:384
	ds_write_b128 v24, v[151:154] offset:576
	;; [unrolled: 1-line block ×11, first 2 shown]
	ds_write_b128 v24, v[20:23]
	ds_write_b128 v24, v[83:86] offset:2304
.LBB0_17:
	s_or_b32 exec_lo, exec_lo, s33
	v_mov_b32_e32 v65, 0
	v_subrev_nc_u32_e32 v2, 39, v54
	v_cmp_gt_u32_e64 s0, 39, v54
	v_lshrrev_b16 v4, 2, v63
	v_mov_b32_e32 v6, 0xd21
	v_lshlrev_b64 v[0:1], 4, v[64:65]
	v_mov_b32_e32 v12, 5
	v_cndmask_b32_e64 v32, v2, v58, s0
	s_waitcnt lgkmcnt(0)
	v_mul_u32_u24_sdwa v7, v4, v6 dst_sel:DWORD dst_unused:UNUSED_PAD src0_sel:WORD_0 src1_sel:DWORD
	s_barrier
	v_add_co_u32 v30, s0, s12, v0
	v_lshlrev_b32_e32 v64, 1, v32
	v_add_co_ci_u32_e64 v31, s0, s13, v1, s0
	v_lshrrev_b32_e32 v33, 17, v7
	v_lshrrev_b16 v7, 2, v62
	v_add_co_u32 v0, s0, 0x9a0, v30
	v_lshlrev_b64 v[2:3], 4, v[64:65]
	v_add_co_ci_u32_e64 v1, s0, 0, v31, s0
	v_mul_lo_u16 v10, 0x9c, v33
	v_mul_u32_u24_sdwa v6, v7, v6 dst_sel:DWORD dst_unused:UNUSED_PAD src0_sel:WORD_0 src1_sel:DWORD
	v_add_co_u32 v4, s0, 0x800, v30
	v_add_co_ci_u32_e64 v5, s0, 0, v31, s0
	v_add_co_u32 v8, s0, s12, v2
	v_sub_nc_u16 v28, v63, v10
	v_lshrrev_b32_e32 v10, 17, v6
	v_add_co_ci_u32_e64 v9, s0, s13, v3, s0
	v_add_co_u32 v2, s0, 0x9a0, v8
	v_mul_lo_u16 v20, 0x9c, v10
	v_add_co_ci_u32_e64 v3, s0, 0, v9, s0
	v_add_co_u32 v6, s0, 0x800, v8
	buffer_gl0_inv
	v_add_co_ci_u32_e64 v7, s0, 0, v9, s0
	s_clause 0x1
	global_load_dwordx4 v[16:19], v[4:5], off offset:416
	global_load_dwordx4 v[8:11], v[0:1], off offset:16
	v_lshlrev_b32_sdwa v0, v12, v28 dst_sel:DWORD dst_unused:UNUSED_PAD src0_sel:DWORD src1_sel:WORD_0
	v_sub_nc_u16 v1, v62, v20
	s_clause 0x1
	global_load_dwordx4 v[12:15], v[6:7], off offset:416
	global_load_dwordx4 v[4:7], v[2:3], off offset:16
	v_add_nc_u32_e32 v27, v67, v185
	v_add_nc_u32_e32 v26, v69, v183
	v_add_co_u32 v2, s0, s12, v0
	v_and_b32_e32 v29, 0xffff, v1
	v_add_co_ci_u32_e64 v3, null, s13, 0, s0
	v_add_co_u32 v0, s0, 0x9a0, v2
	v_lshlrev_b32_e32 v20, 5, v29
	v_add_co_ci_u32_e64 v1, s0, 0, v3, s0
	v_add_co_u32 v2, s0, 0x800, v2
	v_add_co_ci_u32_e64 v3, s0, 0, v3, s0
	v_add_co_u32 v24, s0, s12, v20
	v_add_co_ci_u32_e64 v25, null, s13, 0, s0
	global_load_dwordx4 v[20:23], v[2:3], off offset:416
	v_add_co_u32 v2, s0, 0x800, v24
	v_add_co_ci_u32_e64 v3, s0, 0, v25, s0
	v_add_co_u32 v24, s0, 0x9a0, v24
	v_add_co_ci_u32_e64 v25, s0, 0, v25, s0
	s_clause 0x2
	global_load_dwordx4 v[34:37], v[0:1], off offset:16
	global_load_dwordx4 v[38:41], v[2:3], off offset:416
	;; [unrolled: 1-line block ×3, first 2 shown]
	v_add_nc_u32_e32 v24, v182, v186
	ds_read_b128 v[0:3], v179
	ds_read_b128 v[46:49], v179 offset:9360
	ds_read_b128 v[72:75], v179 offset:14976
	;; [unrolled: 1-line block ×7, first 2 shown]
	ds_read_b128 v[96:99], v24
	ds_read_b128 v[100:103], v27
	v_cmp_lt_u32_e64 s0, 38, v54
	v_mov_b32_e32 v67, v65
	v_mov_b32_e32 v69, v65
	;; [unrolled: 1-line block ×3, first 2 shown]
	v_lshlrev_b32_e32 v32, 4, v32
	v_cndmask_b32_e64 v64, 0, 0x1d40, s0
	v_lshlrev_b64 v[50:51], 4, v[66:67]
	v_lshlrev_b64 v[66:67], 4, v[68:69]
	;; [unrolled: 1-line block ×3, first 2 shown]
	v_add_co_u32 v70, s0, 0x1d20, v30
	v_add_co_ci_u32_e64 v71, s0, 0, v31, s0
	v_add_co_u32 v112, s0, 0x1800, v30
	v_add3_u32 v64, 0, v64, v32
	v_mul_u32_u24_e32 v123, 0x1d40, v33
	v_add_co_ci_u32_e64 v113, s0, 0, v31, s0
	v_add_co_u32 v124, s0, s12, v50
	v_add_co_ci_u32_e64 v125, s0, s13, v51, s0
	v_add_co_u32 v126, s0, s12, v66
	v_add_co_ci_u32_e64 v127, s0, s13, v67, s0
	v_add_nc_u32_e32 v25, v181, v184
	v_add_co_u32 v128, s0, s12, v68
	ds_read_b128 v[104:107], v26
	ds_read_b128 v[108:111], v25
	v_add_co_ci_u32_e64 v129, s0, s13, v69, s0
	s_mov_b32 s4, 0xe8584caa
	s_mov_b32 s5, 0xbfebb67a
	;; [unrolled: 1-line block ×4, first 2 shown]
	v_mov_b32_e32 v122, 4
	v_lshl_add_u32 v29, v29, 4, 0
	s_waitcnt vmcnt(0) lgkmcnt(0)
	s_barrier
	buffer_gl0_inv
	v_lshlrev_b32_sdwa v28, v122, v28 dst_sel:DWORD dst_unused:UNUSED_PAD src0_sel:DWORD src1_sel:WORD_0
	s_add_u32 s1, s12, 0x57a0
	v_add3_u32 v28, 0, v123, v28
	v_mul_f64 v[30:31], v[98:99], v[18:19]
	v_mul_f64 v[18:19], v[96:97], v[18:19]
	;; [unrolled: 1-line block ×8, first 2 shown]
	v_fma_f64 v[30:31], v[96:97], v[16:17], v[30:31]
	v_fma_f64 v[16:17], v[98:99], v[16:17], -v[18:19]
	v_fma_f64 v[18:19], v[72:73], v[8:9], v[32:33]
	v_mul_f64 v[66:67], v[82:83], v[22:23]
	v_mul_f64 v[22:23], v[80:81], v[22:23]
	v_fma_f64 v[8:9], v[74:75], v[8:9], -v[10:11]
	v_fma_f64 v[10:11], v[46:47], v[12:13], v[50:51]
	v_fma_f64 v[12:13], v[48:49], v[12:13], -v[14:15]
	v_fma_f64 v[14:15], v[76:77], v[4:5], v[114:115]
	v_fma_f64 v[6:7], v[78:79], v[4:5], -v[6:7]
	v_add_co_u32 v50, s0, 0x1d20, v124
	v_mul_f64 v[116:117], v[90:91], v[36:37]
	v_mul_f64 v[36:37], v[88:89], v[36:37]
	v_mul_f64 v[118:119], v[86:87], v[40:41]
	v_mul_f64 v[40:41], v[84:85], v[40:41]
	v_mul_f64 v[120:121], v[94:95], v[44:45]
	v_mul_f64 v[44:45], v[92:93], v[44:45]
	v_add_co_ci_u32_e64 v51, s0, 0, v125, s0
	v_add_co_u32 v72, s0, 0x1800, v124
	v_add_f64 v[68:69], v[0:1], v[30:31]
	v_add_co_ci_u32_e64 v73, s0, 0, v125, s0
	v_fma_f64 v[4:5], v[80:81], v[20:21], v[66:67]
	v_fma_f64 v[20:21], v[82:83], v[20:21], -v[22:23]
	v_add_f64 v[80:81], v[16:17], -v[8:9]
	v_add_co_u32 v74, s0, 0x1d20, v126
	v_add_f64 v[46:47], v[10:11], v[14:15]
	v_add_f64 v[48:49], v[12:13], v[6:7]
	v_add_f64 v[96:97], v[10:11], -v[14:15]
	v_add_co_ci_u32_e64 v75, s0, 0, v127, s0
	v_fma_f64 v[22:23], v[88:89], v[34:35], v[116:117]
	v_fma_f64 v[32:33], v[90:91], v[34:35], -v[36:37]
	v_fma_f64 v[34:35], v[84:85], v[38:39], v[118:119]
	v_fma_f64 v[36:37], v[86:87], v[38:39], -v[40:41]
	v_fma_f64 v[38:39], v[92:93], v[42:43], v[120:121]
	v_fma_f64 v[40:41], v[94:95], v[42:43], -v[44:45]
	v_add_f64 v[42:43], v[30:31], v[18:19]
	v_add_f64 v[44:45], v[16:17], v[8:9]
	v_add_f64 v[16:17], v[2:3], v[16:17]
	v_add_f64 v[30:31], v[30:31], -v[18:19]
	v_add_f64 v[86:87], v[100:101], v[10:11]
	v_add_f64 v[88:89], v[102:103], v[12:13]
	v_add_f64 v[94:95], v[12:13], -v[6:7]
	v_add_f64 v[92:93], v[106:107], v[20:21]
	v_add_f64 v[90:91], v[104:105], v[4:5]
	v_add_co_u32 v76, s0, 0x1800, v126
	v_fma_f64 v[46:47], v[46:47], -0.5, v[100:101]
	v_fma_f64 v[48:49], v[48:49], -0.5, v[102:103]
	v_add_co_ci_u32_e64 v77, s0, 0, v127, s0
	v_add_f64 v[66:67], v[4:5], v[22:23]
	v_add_f64 v[78:79], v[20:21], v[32:33]
	v_add_f64 v[98:99], v[108:109], v[34:35]
	v_add_f64 v[114:115], v[110:111], v[36:37]
	v_add_f64 v[82:83], v[34:35], v[38:39]
	v_add_f64 v[84:85], v[36:37], v[40:41]
	v_fma_f64 v[42:43], v[42:43], -0.5, v[0:1]
	v_fma_f64 v[44:45], v[44:45], -0.5, v[2:3]
	v_add_f64 v[100:101], v[20:21], -v[32:33]
	v_add_f64 v[102:103], v[4:5], -v[22:23]
	v_add_f64 v[0:1], v[68:69], v[18:19]
	v_add_f64 v[2:3], v[16:17], v[8:9]
	;; [unrolled: 1-line block ×6, first 2 shown]
	v_fma_f64 v[32:33], v[96:97], s[6:7], v[48:49]
	v_fma_f64 v[66:67], v[66:67], -0.5, v[104:105]
	v_fma_f64 v[68:69], v[78:79], -0.5, v[106:107]
	v_add_f64 v[78:79], v[36:37], -v[40:41]
	v_add_f64 v[104:105], v[34:35], -v[38:39]
	v_fma_f64 v[82:83], v[82:83], -0.5, v[108:109]
	v_fma_f64 v[84:85], v[84:85], -0.5, v[110:111]
	v_fma_f64 v[12:13], v[80:81], s[4:5], v[42:43]
	v_fma_f64 v[14:15], v[30:31], s[6:7], v[44:45]
	v_fma_f64 v[16:17], v[80:81], s[6:7], v[42:43]
	v_fma_f64 v[18:19], v[30:31], s[4:5], v[44:45]
	v_fma_f64 v[30:31], v[94:95], s[4:5], v[46:47]
	v_fma_f64 v[34:35], v[94:95], s[6:7], v[46:47]
	v_fma_f64 v[36:37], v[96:97], s[4:5], v[48:49]
	v_add_f64 v[20:21], v[98:99], v[38:39]
	v_add_f64 v[22:23], v[114:115], v[40:41]
	v_fma_f64 v[38:39], v[100:101], s[4:5], v[66:67]
	v_fma_f64 v[40:41], v[102:103], s[6:7], v[68:69]
	;; [unrolled: 1-line block ×8, first 2 shown]
	v_add_co_u32 v78, s0, 0x1d20, v128
	v_add_co_ci_u32_e64 v79, s0, 0, v129, s0
	ds_write_b128 v179, v[0:3]
	ds_write_b128 v179, v[12:15] offset:2496
	ds_write_b128 v179, v[16:19] offset:4992
	ds_write_b128 v64, v[4:7]
	ds_write_b128 v64, v[30:33] offset:2496
	ds_write_b128 v64, v[34:37] offset:4992
	;; [unrolled: 3-line block ×3, first 2 shown]
	ds_write_b128 v29, v[20:23] offset:14976
	ds_write_b128 v29, v[46:49] offset:17472
	;; [unrolled: 1-line block ×3, first 2 shown]
	s_waitcnt lgkmcnt(0)
	s_barrier
	buffer_gl0_inv
	s_clause 0x3
	global_load_dwordx4 v[0:3], v[112:113], off offset:1312
	global_load_dwordx4 v[4:7], v[70:71], off offset:16
	global_load_dwordx4 v[8:11], v[72:73], off offset:1312
	global_load_dwordx4 v[12:15], v[50:51], off offset:16
	v_add_co_u32 v28, s0, 0x1800, v128
	v_add_co_ci_u32_e64 v29, s0, 0, v129, s0
	s_clause 0x3
	global_load_dwordx4 v[16:19], v[76:77], off offset:1312
	global_load_dwordx4 v[20:23], v[74:75], off offset:16
	;; [unrolled: 1-line block ×4, first 2 shown]
	ds_read_b128 v[36:39], v24
	ds_read_b128 v[40:43], v179 offset:14976
	ds_read_b128 v[44:47], v179 offset:9360
	ds_read_b128 v[48:51], v179 offset:16848
	ds_read_b128 v[66:69], v179 offset:11232
	ds_read_b128 v[70:73], v179 offset:18720
	ds_read_b128 v[74:77], v179 offset:13104
	ds_read_b128 v[78:81], v179 offset:20592
	ds_read_b128 v[82:85], v27
	ds_read_b128 v[86:89], v179
	s_waitcnt vmcnt(7) lgkmcnt(9)
	v_mul_f64 v[90:91], v[38:39], v[2:3]
	s_waitcnt vmcnt(6) lgkmcnt(8)
	v_mul_f64 v[92:93], v[42:43], v[6:7]
	v_mul_f64 v[2:3], v[36:37], v[2:3]
	v_mul_f64 v[6:7], v[40:41], v[6:7]
	s_waitcnt vmcnt(5) lgkmcnt(7)
	v_mul_f64 v[94:95], v[46:47], v[10:11]
	s_waitcnt vmcnt(4) lgkmcnt(6)
	v_mul_f64 v[96:97], v[50:51], v[14:15]
	v_mul_f64 v[10:11], v[44:45], v[10:11]
	v_mul_f64 v[14:15], v[48:49], v[14:15]
	;; [unrolled: 6-line block ×4, first 2 shown]
	v_fma_f64 v[36:37], v[36:37], v[0:1], v[90:91]
	v_fma_f64 v[40:41], v[40:41], v[4:5], v[92:93]
	v_fma_f64 v[38:39], v[38:39], v[0:1], -v[2:3]
	v_fma_f64 v[42:43], v[42:43], v[4:5], -v[6:7]
	v_fma_f64 v[44:45], v[44:45], v[8:9], v[94:95]
	v_fma_f64 v[48:49], v[48:49], v[12:13], v[96:97]
	v_fma_f64 v[8:9], v[46:47], v[8:9], -v[10:11]
	v_fma_f64 v[10:11], v[50:51], v[12:13], -v[14:15]
	;; [unrolled: 4-line block ×4, first 2 shown]
	ds_read_b128 v[0:3], v26
	ds_read_b128 v[4:7], v25
	s_waitcnt lgkmcnt(0)
	s_barrier
	buffer_gl0_inv
	v_add_f64 v[68:69], v[86:87], v[36:37]
	v_add_f64 v[32:33], v[36:37], v[40:41]
	v_add_f64 v[36:37], v[36:37], -v[40:41]
	v_add_f64 v[34:35], v[38:39], v[42:43]
	v_add_f64 v[72:73], v[38:39], -v[42:43]
	v_add_f64 v[46:47], v[44:45], v[48:49]
	v_add_f64 v[38:39], v[88:89], v[38:39]
	;; [unrolled: 1-line block ×7, first 2 shown]
	v_add_f64 v[44:45], v[44:45], -v[48:49]
	v_add_f64 v[74:75], v[20:21], v[22:23]
	v_add_f64 v[92:93], v[2:3], v[16:17]
	;; [unrolled: 1-line block ×6, first 2 shown]
	v_add_f64 v[98:99], v[20:21], -v[22:23]
	v_fma_f64 v[32:33], v[32:33], -0.5, v[86:87]
	v_add_f64 v[86:87], v[8:9], -v[10:11]
	v_fma_f64 v[34:35], v[34:35], -0.5, v[88:89]
	;; [unrolled: 2-line block ×5, first 2 shown]
	v_add_f64 v[0:1], v[68:69], v[40:41]
	v_fma_f64 v[70:71], v[70:71], -0.5, v[2:3]
	v_add_f64 v[2:3], v[38:39], v[42:43]
	v_fma_f64 v[74:75], v[74:75], -0.5, v[4:5]
	;; [unrolled: 2-line block ×3, first 2 shown]
	v_add_f64 v[6:7], v[80:81], v[10:11]
	v_add_f64 v[10:11], v[92:93], v[18:19]
	;; [unrolled: 1-line block ×5, first 2 shown]
	v_fma_f64 v[16:17], v[72:73], s[4:5], v[32:33]
	v_fma_f64 v[20:21], v[72:73], s[6:7], v[32:33]
	;; [unrolled: 1-line block ×16, first 2 shown]
	ds_write_b128 v179, v[0:3]
	ds_write_b128 v179, v[16:19] offset:7488
	ds_write_b128 v179, v[20:23] offset:14976
	ds_write_b128 v27, v[4:7]
	ds_write_b128 v27, v[28:31] offset:7488
	ds_write_b128 v27, v[32:35] offset:14976
	;; [unrolled: 3-line block ×4, first 2 shown]
	s_waitcnt lgkmcnt(0)
	s_barrier
	buffer_gl0_inv
	ds_read_b128 v[4:7], v179
	v_sub_nc_u32_e32 v12, 0, v55
	s_addc_u32 s4, s13, 0
	s_mov_b32 s5, exec_lo
                                        ; implicit-def: $vgpr0_vgpr1
                                        ; implicit-def: $vgpr8_vgpr9
                                        ; implicit-def: $vgpr10_vgpr11
	v_cmpx_ne_u32_e32 0, v54
	s_xor_b32 s5, exec_lo, s5
	s_cbranch_execz .LBB0_19
; %bb.18:
	v_mov_b32_e32 v55, v65
	v_lshlrev_b64 v[0:1], 4, v[54:55]
	v_add_co_u32 v0, s0, s1, v0
	v_add_co_ci_u32_e64 v1, s0, s4, v1, s0
	global_load_dwordx4 v[13:16], v[0:1], off
	ds_read_b128 v[0:3], v12 offset:22464
	s_waitcnt lgkmcnt(0)
	v_add_f64 v[8:9], v[4:5], -v[0:1]
	v_add_f64 v[10:11], v[6:7], v[2:3]
	v_add_f64 v[2:3], v[6:7], -v[2:3]
	v_add_f64 v[0:1], v[4:5], v[0:1]
	v_mul_f64 v[6:7], v[8:9], 0.5
	v_mul_f64 v[4:5], v[10:11], 0.5
	;; [unrolled: 1-line block ×3, first 2 shown]
	s_waitcnt vmcnt(0)
	v_mul_f64 v[8:9], v[6:7], v[15:16]
	v_fma_f64 v[10:11], v[4:5], v[15:16], v[2:3]
	v_fma_f64 v[2:3], v[4:5], v[15:16], -v[2:3]
	v_fma_f64 v[17:18], v[0:1], 0.5, v[8:9]
	v_fma_f64 v[0:1], v[0:1], 0.5, -v[8:9]
	v_fma_f64 v[10:11], -v[13:14], v[6:7], v[10:11]
	v_fma_f64 v[2:3], -v[13:14], v[6:7], v[2:3]
	v_fma_f64 v[8:9], v[4:5], v[13:14], v[17:18]
	v_fma_f64 v[0:1], -v[4:5], v[13:14], v[0:1]
                                        ; implicit-def: $vgpr4_vgpr5
.LBB0_19:
	s_or_saveexec_b32 s0, s5
	v_sub_nc_u32_e32 v13, 0, v59
	s_xor_b32 exec_lo, exec_lo, s0
	s_cbranch_execz .LBB0_21
; %bb.20:
	v_mov_b32_e32 v16, 0
	s_waitcnt lgkmcnt(0)
	v_add_f64 v[8:9], v[4:5], v[6:7]
	v_add_f64 v[0:1], v[4:5], -v[6:7]
	v_mov_b32_e32 v10, 0
	v_mov_b32_e32 v11, 0
	ds_read_b64 v[14:15], v16 offset:11240
	v_mov_b32_e32 v2, v10
	v_mov_b32_e32 v3, v11
	s_waitcnt lgkmcnt(0)
	v_xor_b32_e32 v15, 0x80000000, v15
	ds_write_b64 v16, v[14:15] offset:11240
.LBB0_21:
	s_or_b32 exec_lo, exec_lo, s0
	v_mov_b32_e32 v59, 0
	ds_write2_b64 v179, v[8:9], v[10:11] offset1:1
	ds_write_b128 v12, v[0:3] offset:22464
	v_add_nc_u32_e32 v13, v180, v13
	s_waitcnt lgkmcnt(2)
	v_lshlrev_b64 v[4:5], 4, v[58:59]
	v_mov_b32_e32 v64, v59
	v_lshlrev_b64 v[14:15], 4, v[63:64]
	v_add_co_u32 v4, s0, s1, v4
	v_add_co_ci_u32_e64 v5, s0, s4, v5, s0
	v_mov_b32_e32 v63, v59
	v_add_co_u32 v14, s0, s1, v14
	global_load_dwordx4 v[4:7], v[4:5], off
	v_add_co_ci_u32_e64 v15, s0, s4, v15, s0
	v_lshlrev_b64 v[18:19], 4, v[62:63]
	v_mov_b32_e32 v62, v59
	global_load_dwordx4 v[14:17], v[14:15], off
	ds_read_b128 v[0:3], v27
	ds_read_b128 v[8:11], v12 offset:20592
	v_add_co_u32 v18, s0, s1, v18
	v_add_co_ci_u32_e64 v19, s0, s4, v19, s0
	global_load_dwordx4 v[18:21], v[18:19], off
	s_waitcnt lgkmcnt(0)
	v_add_f64 v[22:23], v[0:1], -v[8:9]
	v_add_f64 v[28:29], v[2:3], v[10:11]
	v_add_f64 v[2:3], v[2:3], -v[10:11]
	v_add_f64 v[0:1], v[0:1], v[8:9]
	v_mul_f64 v[10:11], v[22:23], 0.5
	v_mul_f64 v[22:23], v[28:29], 0.5
	;; [unrolled: 1-line block ×3, first 2 shown]
	s_waitcnt vmcnt(2)
	v_mul_f64 v[8:9], v[10:11], v[6:7]
	v_fma_f64 v[28:29], v[22:23], v[6:7], v[2:3]
	v_fma_f64 v[2:3], v[22:23], v[6:7], -v[2:3]
	v_fma_f64 v[6:7], v[0:1], 0.5, v[8:9]
	v_fma_f64 v[0:1], v[0:1], 0.5, -v[8:9]
	v_fma_f64 v[8:9], -v[4:5], v[10:11], v[28:29]
	v_fma_f64 v[2:3], -v[4:5], v[10:11], v[2:3]
	v_lshlrev_b64 v[10:11], 4, v[61:62]
	v_mov_b32_e32 v61, v59
	v_fma_f64 v[6:7], v[22:23], v[4:5], v[6:7]
	v_fma_f64 v[0:1], -v[22:23], v[4:5], v[0:1]
	ds_write_b64 v27, v[8:9] offset:8
	ds_write_b64 v12, v[2:3] offset:20600
	ds_write_b64 v27, v[6:7]
	ds_write_b64 v12, v[0:1] offset:20592
	v_add_co_u32 v8, s0, s1, v10
	v_add_co_ci_u32_e64 v9, s0, s4, v11, s0
	ds_read_b128 v[0:3], v26
	ds_read_b128 v[4:7], v12 offset:18720
	global_load_dwordx4 v[8:11], v[8:9], off
	s_waitcnt lgkmcnt(0)
	v_add_f64 v[22:23], v[0:1], -v[4:5]
	v_add_f64 v[27:28], v[2:3], v[6:7]
	v_add_f64 v[2:3], v[2:3], -v[6:7]
	v_add_f64 v[0:1], v[0:1], v[4:5]
	v_mul_f64 v[6:7], v[22:23], 0.5
	v_mul_f64 v[22:23], v[27:28], 0.5
	;; [unrolled: 1-line block ×3, first 2 shown]
	s_waitcnt vmcnt(2)
	v_mul_f64 v[4:5], v[6:7], v[16:17]
	v_fma_f64 v[27:28], v[22:23], v[16:17], v[2:3]
	v_fma_f64 v[2:3], v[22:23], v[16:17], -v[2:3]
	v_fma_f64 v[16:17], v[0:1], 0.5, v[4:5]
	v_fma_f64 v[0:1], v[0:1], 0.5, -v[4:5]
	v_fma_f64 v[4:5], -v[14:15], v[6:7], v[27:28]
	v_fma_f64 v[2:3], -v[14:15], v[6:7], v[2:3]
	v_fma_f64 v[6:7], v[22:23], v[14:15], v[16:17]
	v_fma_f64 v[0:1], -v[22:23], v[14:15], v[0:1]
	v_lshlrev_b64 v[14:15], 4, v[60:61]
	ds_write_b64 v26, v[4:5] offset:8
	ds_write_b64 v12, v[2:3] offset:18728
	ds_write_b64 v26, v[6:7]
	ds_write_b64 v12, v[0:1] offset:18720
	v_add_co_u32 v14, s0, s1, v14
	v_add_co_ci_u32_e64 v15, s0, s4, v15, s0
	ds_read_b128 v[0:3], v25
	ds_read_b128 v[4:7], v12 offset:16848
	global_load_dwordx4 v[14:17], v[14:15], off
	s_waitcnt lgkmcnt(0)
	v_add_f64 v[22:23], v[0:1], -v[4:5]
	v_add_f64 v[26:27], v[2:3], v[6:7]
	v_add_f64 v[2:3], v[2:3], -v[6:7]
	v_add_f64 v[0:1], v[0:1], v[4:5]
	v_mul_f64 v[6:7], v[22:23], 0.5
	v_mul_f64 v[22:23], v[26:27], 0.5
	;; [unrolled: 1-line block ×3, first 2 shown]
	s_waitcnt vmcnt(2)
	v_mul_f64 v[4:5], v[6:7], v[20:21]
	v_fma_f64 v[26:27], v[22:23], v[20:21], v[2:3]
	v_fma_f64 v[2:3], v[22:23], v[20:21], -v[2:3]
	v_fma_f64 v[20:21], v[0:1], 0.5, v[4:5]
	v_fma_f64 v[0:1], v[0:1], 0.5, -v[4:5]
	v_fma_f64 v[4:5], -v[18:19], v[6:7], v[26:27]
	v_fma_f64 v[2:3], -v[18:19], v[6:7], v[2:3]
	v_fma_f64 v[6:7], v[22:23], v[18:19], v[20:21]
	v_fma_f64 v[0:1], -v[22:23], v[18:19], v[0:1]
	ds_write_b64 v25, v[4:5] offset:8
	ds_write_b64 v12, v[2:3] offset:16856
	ds_write_b64 v25, v[6:7]
	ds_write_b64 v12, v[0:1] offset:16848
	ds_read_b128 v[0:3], v24
	ds_read_b128 v[4:7], v12 offset:14976
	s_waitcnt lgkmcnt(0)
	v_add_f64 v[18:19], v[0:1], -v[4:5]
	v_add_f64 v[20:21], v[2:3], v[6:7]
	v_add_f64 v[2:3], v[2:3], -v[6:7]
	v_add_f64 v[0:1], v[0:1], v[4:5]
	v_mul_f64 v[6:7], v[18:19], 0.5
	v_mul_f64 v[18:19], v[20:21], 0.5
	;; [unrolled: 1-line block ×3, first 2 shown]
	s_waitcnt vmcnt(1)
	v_mul_f64 v[4:5], v[6:7], v[10:11]
	v_fma_f64 v[20:21], v[18:19], v[10:11], v[2:3]
	v_fma_f64 v[2:3], v[18:19], v[10:11], -v[2:3]
	v_fma_f64 v[10:11], v[0:1], 0.5, v[4:5]
	v_fma_f64 v[0:1], v[0:1], 0.5, -v[4:5]
	v_fma_f64 v[4:5], -v[8:9], v[6:7], v[20:21]
	v_fma_f64 v[2:3], -v[8:9], v[6:7], v[2:3]
	v_fma_f64 v[6:7], v[18:19], v[8:9], v[10:11]
	v_fma_f64 v[0:1], -v[18:19], v[8:9], v[0:1]
	ds_write_b64 v24, v[4:5] offset:8
	ds_write_b64 v12, v[2:3] offset:14984
	ds_write_b64 v24, v[6:7]
	ds_write_b64 v12, v[0:1] offset:14976
	ds_read_b128 v[0:3], v13
	ds_read_b128 v[4:7], v12 offset:13104
	s_waitcnt lgkmcnt(0)
	v_add_f64 v[8:9], v[0:1], -v[4:5]
	v_add_f64 v[10:11], v[2:3], v[6:7]
	v_add_f64 v[2:3], v[2:3], -v[6:7]
	v_add_f64 v[0:1], v[0:1], v[4:5]
	v_mul_f64 v[6:7], v[8:9], 0.5
	v_mul_f64 v[8:9], v[10:11], 0.5
	v_mul_f64 v[2:3], v[2:3], 0.5
	s_waitcnt vmcnt(0)
	v_mul_f64 v[4:5], v[6:7], v[16:17]
	v_fma_f64 v[10:11], v[8:9], v[16:17], v[2:3]
	v_fma_f64 v[2:3], v[8:9], v[16:17], -v[2:3]
	v_fma_f64 v[16:17], v[0:1], 0.5, v[4:5]
	v_fma_f64 v[0:1], v[0:1], 0.5, -v[4:5]
	v_fma_f64 v[4:5], -v[14:15], v[6:7], v[10:11]
	v_fma_f64 v[2:3], -v[14:15], v[6:7], v[2:3]
	v_fma_f64 v[6:7], v[8:9], v[14:15], v[16:17]
	v_fma_f64 v[0:1], -v[8:9], v[14:15], v[0:1]
	ds_write_b64 v13, v[4:5] offset:8
	ds_write_b64 v12, v[2:3] offset:13112
	ds_write_b64 v13, v[6:7]
	ds_write_b64 v12, v[0:1] offset:13104
	s_waitcnt lgkmcnt(0)
	s_barrier
	buffer_gl0_inv
	s_and_saveexec_b32 s0, vcc_lo
	s_cbranch_execz .LBB0_24
; %bb.22:
	v_mul_lo_u32 v2, s3, v56
	v_mul_lo_u32 v3, s2, v57
	v_mad_u64_u32 v[0:1], null, s2, v56, 0
	v_mov_b32_e32 v55, v59
	v_lshlrev_b64 v[10:11], 4, v[52:53]
	v_lshl_add_u32 v28, v54, 4, 0
	v_add_nc_u32_e32 v58, 0x75, v54
	v_lshlrev_b64 v[12:13], 4, v[54:55]
	v_add3_u32 v1, v1, v3, v2
	ds_read_b128 v[2:5], v28
	ds_read_b128 v[6:9], v28 offset:1872
	v_lshlrev_b64 v[18:19], 4, v[58:59]
	v_add_nc_u32_e32 v58, 0xea, v54
	v_lshlrev_b64 v[0:1], 4, v[0:1]
	v_lshlrev_b64 v[20:21], 4, v[58:59]
	v_add_nc_u32_e32 v58, 0x15f, v54
	v_add_co_u32 v0, vcc_lo, s10, v0
	v_add_co_ci_u32_e32 v1, vcc_lo, s11, v1, vcc_lo
	v_lshlrev_b64 v[24:25], 4, v[58:59]
	v_add_co_u32 v0, vcc_lo, v0, v10
	v_add_co_ci_u32_e32 v1, vcc_lo, v1, v11, vcc_lo
	v_add_nc_u32_e32 v58, 0x1d4, v54
	v_add_co_u32 v22, vcc_lo, v0, v12
	v_add_co_ci_u32_e32 v23, vcc_lo, v1, v13, vcc_lo
	ds_read_b128 v[10:13], v28 offset:3744
	ds_read_b128 v[14:17], v28 offset:5616
	v_add_co_u32 v18, vcc_lo, v0, v18
	v_add_co_ci_u32_e32 v19, vcc_lo, v1, v19, vcc_lo
	v_add_co_u32 v20, vcc_lo, v0, v20
	v_add_co_ci_u32_e32 v21, vcc_lo, v1, v21, vcc_lo
	;; [unrolled: 2-line block ×3, first 2 shown]
	v_lshlrev_b64 v[26:27], 4, v[58:59]
	v_add_nc_u32_e32 v58, 0x249, v54
	s_waitcnt lgkmcnt(3)
	global_store_dwordx4 v[22:23], v[2:5], off
	s_waitcnt lgkmcnt(2)
	global_store_dwordx4 v[18:19], v[6:9], off
	;; [unrolled: 2-line block ×4, first 2 shown]
	ds_read_b128 v[2:5], v28 offset:7488
	ds_read_b128 v[6:9], v28 offset:9360
	v_lshlrev_b64 v[18:19], 4, v[58:59]
	v_add_nc_u32_e32 v58, 0x2be, v54
	ds_read_b128 v[10:13], v28 offset:11232
	ds_read_b128 v[14:17], v28 offset:13104
	v_add_co_u32 v20, vcc_lo, v0, v26
	v_add_co_ci_u32_e32 v21, vcc_lo, v1, v27, vcc_lo
	v_lshlrev_b64 v[22:23], 4, v[58:59]
	v_add_nc_u32_e32 v58, 0x333, v54
	v_add_co_u32 v18, vcc_lo, v0, v18
	v_add_co_ci_u32_e32 v19, vcc_lo, v1, v19, vcc_lo
	v_lshlrev_b64 v[24:25], 4, v[58:59]
	v_add_nc_u32_e32 v58, 0x3a8, v54
	v_add_co_u32 v22, vcc_lo, v0, v22
	v_add_co_ci_u32_e32 v23, vcc_lo, v1, v23, vcc_lo
	s_waitcnt lgkmcnt(3)
	global_store_dwordx4 v[20:21], v[2:5], off
	v_lshlrev_b64 v[2:3], 4, v[58:59]
	v_add_nc_u32_e32 v58, 0x41d, v54
	v_add_co_u32 v24, vcc_lo, v0, v24
	v_add_co_ci_u32_e32 v25, vcc_lo, v1, v25, vcc_lo
	v_lshlrev_b64 v[20:21], 4, v[58:59]
	v_add_nc_u32_e32 v58, 0x492, v54
	s_waitcnt lgkmcnt(2)
	global_store_dwordx4 v[18:19], v[6:9], off
	s_waitcnt lgkmcnt(1)
	global_store_dwordx4 v[22:23], v[10:13], off
	;; [unrolled: 2-line block ×3, first 2 shown]
	v_add_co_u32 v18, vcc_lo, v0, v2
	v_add_co_ci_u32_e32 v19, vcc_lo, v1, v3, vcc_lo
	ds_read_b128 v[2:5], v28 offset:14976
	ds_read_b128 v[6:9], v28 offset:16848
	;; [unrolled: 1-line block ×4, first 2 shown]
	v_lshlrev_b64 v[22:23], 4, v[58:59]
	v_add_nc_u32_e32 v58, 0x507, v54
	v_add_co_u32 v20, vcc_lo, v0, v20
	v_add_co_ci_u32_e32 v21, vcc_lo, v1, v21, vcc_lo
	v_lshlrev_b64 v[24:25], 4, v[58:59]
	v_add_co_u32 v22, vcc_lo, v0, v22
	v_add_co_ci_u32_e32 v23, vcc_lo, v1, v23, vcc_lo
	v_add_co_u32 v24, vcc_lo, v0, v24
	v_add_co_ci_u32_e32 v25, vcc_lo, v1, v25, vcc_lo
	v_cmp_eq_u32_e32 vcc_lo, 0x74, v54
	s_waitcnt lgkmcnt(3)
	global_store_dwordx4 v[18:19], v[2:5], off
	s_waitcnt lgkmcnt(2)
	global_store_dwordx4 v[20:21], v[6:9], off
	;; [unrolled: 2-line block ×4, first 2 shown]
	s_and_b32 exec_lo, exec_lo, vcc_lo
	s_cbranch_execz .LBB0_24
; %bb.23:
	v_mov_b32_e32 v2, 0
	v_add_co_u32 v0, vcc_lo, 0x5000, v0
	v_add_co_ci_u32_e32 v1, vcc_lo, 0, v1, vcc_lo
	ds_read_b128 v[2:5], v2 offset:22464
	s_waitcnt lgkmcnt(0)
	global_store_dwordx4 v[0:1], v[2:5], off offset:1984
.LBB0_24:
	s_endpgm
	.section	.rodata,"a",@progbits
	.p2align	6, 0x0
	.amdhsa_kernel fft_rtc_back_len1404_factors_2_2_3_13_3_3_wgs_117_tpt_117_halfLds_dp_op_CI_CI_unitstride_sbrr_R2C_dirReg
		.amdhsa_group_segment_fixed_size 0
		.amdhsa_private_segment_fixed_size 0
		.amdhsa_kernarg_size 104
		.amdhsa_user_sgpr_count 6
		.amdhsa_user_sgpr_private_segment_buffer 1
		.amdhsa_user_sgpr_dispatch_ptr 0
		.amdhsa_user_sgpr_queue_ptr 0
		.amdhsa_user_sgpr_kernarg_segment_ptr 1
		.amdhsa_user_sgpr_dispatch_id 0
		.amdhsa_user_sgpr_flat_scratch_init 0
		.amdhsa_user_sgpr_private_segment_size 0
		.amdhsa_wavefront_size32 1
		.amdhsa_uses_dynamic_stack 0
		.amdhsa_system_sgpr_private_segment_wavefront_offset 0
		.amdhsa_system_sgpr_workgroup_id_x 1
		.amdhsa_system_sgpr_workgroup_id_y 0
		.amdhsa_system_sgpr_workgroup_id_z 0
		.amdhsa_system_sgpr_workgroup_info 0
		.amdhsa_system_vgpr_workitem_id 0
		.amdhsa_next_free_vgpr 206
		.amdhsa_next_free_sgpr 38
		.amdhsa_reserve_vcc 1
		.amdhsa_reserve_flat_scratch 0
		.amdhsa_float_round_mode_32 0
		.amdhsa_float_round_mode_16_64 0
		.amdhsa_float_denorm_mode_32 3
		.amdhsa_float_denorm_mode_16_64 3
		.amdhsa_dx10_clamp 1
		.amdhsa_ieee_mode 1
		.amdhsa_fp16_overflow 0
		.amdhsa_workgroup_processor_mode 1
		.amdhsa_memory_ordered 1
		.amdhsa_forward_progress 0
		.amdhsa_shared_vgpr_count 0
		.amdhsa_exception_fp_ieee_invalid_op 0
		.amdhsa_exception_fp_denorm_src 0
		.amdhsa_exception_fp_ieee_div_zero 0
		.amdhsa_exception_fp_ieee_overflow 0
		.amdhsa_exception_fp_ieee_underflow 0
		.amdhsa_exception_fp_ieee_inexact 0
		.amdhsa_exception_int_div_zero 0
	.end_amdhsa_kernel
	.text
.Lfunc_end0:
	.size	fft_rtc_back_len1404_factors_2_2_3_13_3_3_wgs_117_tpt_117_halfLds_dp_op_CI_CI_unitstride_sbrr_R2C_dirReg, .Lfunc_end0-fft_rtc_back_len1404_factors_2_2_3_13_3_3_wgs_117_tpt_117_halfLds_dp_op_CI_CI_unitstride_sbrr_R2C_dirReg
                                        ; -- End function
	.section	.AMDGPU.csdata,"",@progbits
; Kernel info:
; codeLenInByte = 13804
; NumSgprs: 40
; NumVgprs: 206
; ScratchSize: 0
; MemoryBound: 0
; FloatMode: 240
; IeeeMode: 1
; LDSByteSize: 0 bytes/workgroup (compile time only)
; SGPRBlocks: 4
; VGPRBlocks: 25
; NumSGPRsForWavesPerEU: 40
; NumVGPRsForWavesPerEU: 206
; Occupancy: 4
; WaveLimiterHint : 1
; COMPUTE_PGM_RSRC2:SCRATCH_EN: 0
; COMPUTE_PGM_RSRC2:USER_SGPR: 6
; COMPUTE_PGM_RSRC2:TRAP_HANDLER: 0
; COMPUTE_PGM_RSRC2:TGID_X_EN: 1
; COMPUTE_PGM_RSRC2:TGID_Y_EN: 0
; COMPUTE_PGM_RSRC2:TGID_Z_EN: 0
; COMPUTE_PGM_RSRC2:TIDIG_COMP_CNT: 0
	.text
	.p2alignl 6, 3214868480
	.fill 48, 4, 3214868480
	.type	__hip_cuid_af350b6e83a23253,@object ; @__hip_cuid_af350b6e83a23253
	.section	.bss,"aw",@nobits
	.globl	__hip_cuid_af350b6e83a23253
__hip_cuid_af350b6e83a23253:
	.byte	0                               ; 0x0
	.size	__hip_cuid_af350b6e83a23253, 1

	.ident	"AMD clang version 19.0.0git (https://github.com/RadeonOpenCompute/llvm-project roc-6.4.0 25133 c7fe45cf4b819c5991fe208aaa96edf142730f1d)"
	.section	".note.GNU-stack","",@progbits
	.addrsig
	.addrsig_sym __hip_cuid_af350b6e83a23253
	.amdgpu_metadata
---
amdhsa.kernels:
  - .args:
      - .actual_access:  read_only
        .address_space:  global
        .offset:         0
        .size:           8
        .value_kind:     global_buffer
      - .offset:         8
        .size:           8
        .value_kind:     by_value
      - .actual_access:  read_only
        .address_space:  global
        .offset:         16
        .size:           8
        .value_kind:     global_buffer
      - .actual_access:  read_only
        .address_space:  global
        .offset:         24
        .size:           8
        .value_kind:     global_buffer
      - .actual_access:  read_only
        .address_space:  global
        .offset:         32
        .size:           8
        .value_kind:     global_buffer
      - .offset:         40
        .size:           8
        .value_kind:     by_value
      - .actual_access:  read_only
        .address_space:  global
        .offset:         48
        .size:           8
        .value_kind:     global_buffer
      - .actual_access:  read_only
        .address_space:  global
        .offset:         56
        .size:           8
        .value_kind:     global_buffer
      - .offset:         64
        .size:           4
        .value_kind:     by_value
      - .actual_access:  read_only
        .address_space:  global
        .offset:         72
        .size:           8
        .value_kind:     global_buffer
      - .actual_access:  read_only
        .address_space:  global
        .offset:         80
        .size:           8
        .value_kind:     global_buffer
      - .actual_access:  read_only
        .address_space:  global
        .offset:         88
        .size:           8
        .value_kind:     global_buffer
      - .actual_access:  write_only
        .address_space:  global
        .offset:         96
        .size:           8
        .value_kind:     global_buffer
    .group_segment_fixed_size: 0
    .kernarg_segment_align: 8
    .kernarg_segment_size: 104
    .language:       OpenCL C
    .language_version:
      - 2
      - 0
    .max_flat_workgroup_size: 117
    .name:           fft_rtc_back_len1404_factors_2_2_3_13_3_3_wgs_117_tpt_117_halfLds_dp_op_CI_CI_unitstride_sbrr_R2C_dirReg
    .private_segment_fixed_size: 0
    .sgpr_count:     40
    .sgpr_spill_count: 0
    .symbol:         fft_rtc_back_len1404_factors_2_2_3_13_3_3_wgs_117_tpt_117_halfLds_dp_op_CI_CI_unitstride_sbrr_R2C_dirReg.kd
    .uniform_work_group_size: 1
    .uses_dynamic_stack: false
    .vgpr_count:     206
    .vgpr_spill_count: 0
    .wavefront_size: 32
    .workgroup_processor_mode: 1
amdhsa.target:   amdgcn-amd-amdhsa--gfx1030
amdhsa.version:
  - 1
  - 2
...

	.end_amdgpu_metadata
